;; amdgpu-corpus repo=ROCm/rocFFT kind=compiled arch=gfx1201 opt=O3
	.text
	.amdgcn_target "amdgcn-amd-amdhsa--gfx1201"
	.amdhsa_code_object_version 6
	.protected	fft_rtc_fwd_len546_factors_13_3_7_2_wgs_117_tpt_39_halfLds_sp_op_CI_CI_sbrr_dirReg ; -- Begin function fft_rtc_fwd_len546_factors_13_3_7_2_wgs_117_tpt_39_halfLds_sp_op_CI_CI_sbrr_dirReg
	.globl	fft_rtc_fwd_len546_factors_13_3_7_2_wgs_117_tpt_39_halfLds_sp_op_CI_CI_sbrr_dirReg
	.p2align	8
	.type	fft_rtc_fwd_len546_factors_13_3_7_2_wgs_117_tpt_39_halfLds_sp_op_CI_CI_sbrr_dirReg,@function
fft_rtc_fwd_len546_factors_13_3_7_2_wgs_117_tpt_39_halfLds_sp_op_CI_CI_sbrr_dirReg: ; @fft_rtc_fwd_len546_factors_13_3_7_2_wgs_117_tpt_39_halfLds_sp_op_CI_CI_sbrr_dirReg
; %bb.0:
	s_clause 0x1
	s_load_b128 s[12:15], s[0:1], 0x18
	s_load_b128 s[8:11], s[0:1], 0x0
	v_mul_u32_u24_e32 v1, 0x691, v0
	v_mov_b32_e32 v3, 0
	v_mov_b32_e32 v61, 0
	v_mov_b32_e32 v62, 0
	s_load_b128 s[4:7], s[0:1], 0x58
	s_wait_kmcnt 0x0
	s_load_b64 s[18:19], s[12:13], 0x0
	s_load_b64 s[16:17], s[14:15], 0x0
	v_lshrrev_b32_e32 v1, 16, v1
	v_cmp_lt_u64_e64 s2, s[10:11], 2
	s_delay_alu instid0(VALU_DEP_2) | instskip(SKIP_2) | instid1(VALU_DEP_4)
	v_mad_co_u64_u32 v[59:60], null, ttmp9, 3, v[1:2]
	v_dual_mov_b32 v60, v3 :: v_dual_mov_b32 v1, v61
	v_mov_b32_e32 v2, v62
	s_and_b32 vcc_lo, exec_lo, s2
	s_delay_alu instid0(VALU_DEP_2)
	v_dual_mov_b32 v5, v59 :: v_dual_mov_b32 v6, v60
	s_cbranch_vccnz .LBB0_8
; %bb.1:
	s_load_b64 s[2:3], s[0:1], 0x10
	v_mov_b32_e32 v61, 0
	v_dual_mov_b32 v62, 0 :: v_dual_mov_b32 v7, v59
	s_delay_alu instid0(VALU_DEP_2) | instskip(SKIP_1) | instid1(VALU_DEP_2)
	v_dual_mov_b32 v8, v60 :: v_dual_mov_b32 v1, v61
	s_add_nc_u64 s[20:21], s[14:15], 8
	v_mov_b32_e32 v2, v62
	s_add_nc_u64 s[22:23], s[12:13], 8
	s_mov_b64 s[24:25], 1
	s_wait_kmcnt 0x0
	s_add_nc_u64 s[26:27], s[2:3], 8
	s_mov_b32 s3, 0
.LBB0_2:                                ; =>This Inner Loop Header: Depth=1
	s_load_b64 s[28:29], s[26:27], 0x0
                                        ; implicit-def: $vgpr5_vgpr6
	s_mov_b32 s2, exec_lo
	s_wait_kmcnt 0x0
	v_or_b32_e32 v4, s29, v8
	s_delay_alu instid0(VALU_DEP_1)
	v_cmpx_ne_u64_e32 0, v[3:4]
	s_wait_alu 0xfffe
	s_xor_b32 s30, exec_lo, s2
	s_cbranch_execz .LBB0_4
; %bb.3:                                ;   in Loop: Header=BB0_2 Depth=1
	s_cvt_f32_u32 s2, s28
	s_cvt_f32_u32 s31, s29
	s_sub_nc_u64 s[36:37], 0, s[28:29]
	s_wait_alu 0xfffe
	s_delay_alu instid0(SALU_CYCLE_1) | instskip(SKIP_1) | instid1(SALU_CYCLE_2)
	s_fmamk_f32 s2, s31, 0x4f800000, s2
	s_wait_alu 0xfffe
	v_s_rcp_f32 s2, s2
	s_delay_alu instid0(TRANS32_DEP_1) | instskip(SKIP_1) | instid1(SALU_CYCLE_2)
	s_mul_f32 s2, s2, 0x5f7ffffc
	s_wait_alu 0xfffe
	s_mul_f32 s31, s2, 0x2f800000
	s_wait_alu 0xfffe
	s_delay_alu instid0(SALU_CYCLE_2) | instskip(SKIP_1) | instid1(SALU_CYCLE_2)
	s_trunc_f32 s31, s31
	s_wait_alu 0xfffe
	s_fmamk_f32 s2, s31, 0xcf800000, s2
	s_cvt_u32_f32 s35, s31
	s_wait_alu 0xfffe
	s_delay_alu instid0(SALU_CYCLE_1) | instskip(SKIP_1) | instid1(SALU_CYCLE_2)
	s_cvt_u32_f32 s34, s2
	s_wait_alu 0xfffe
	s_mul_u64 s[38:39], s[36:37], s[34:35]
	s_wait_alu 0xfffe
	s_mul_hi_u32 s41, s34, s39
	s_mul_i32 s40, s34, s39
	s_mul_hi_u32 s2, s34, s38
	s_mul_i32 s33, s35, s38
	s_wait_alu 0xfffe
	s_add_nc_u64 s[40:41], s[2:3], s[40:41]
	s_mul_hi_u32 s31, s35, s38
	s_mul_hi_u32 s42, s35, s39
	s_add_co_u32 s2, s40, s33
	s_wait_alu 0xfffe
	s_add_co_ci_u32 s2, s41, s31
	s_mul_i32 s38, s35, s39
	s_add_co_ci_u32 s39, s42, 0
	s_wait_alu 0xfffe
	s_add_nc_u64 s[38:39], s[2:3], s[38:39]
	s_wait_alu 0xfffe
	v_add_co_u32 v4, s2, s34, s38
	s_delay_alu instid0(VALU_DEP_1) | instskip(SKIP_1) | instid1(VALU_DEP_1)
	s_cmp_lg_u32 s2, 0
	s_add_co_ci_u32 s35, s35, s39
	v_readfirstlane_b32 s34, v4
	s_wait_alu 0xfffe
	s_delay_alu instid0(VALU_DEP_1)
	s_mul_u64 s[36:37], s[36:37], s[34:35]
	s_wait_alu 0xfffe
	s_mul_hi_u32 s39, s34, s37
	s_mul_i32 s38, s34, s37
	s_mul_hi_u32 s2, s34, s36
	s_mul_i32 s33, s35, s36
	s_wait_alu 0xfffe
	s_add_nc_u64 s[38:39], s[2:3], s[38:39]
	s_mul_hi_u32 s31, s35, s36
	s_mul_hi_u32 s34, s35, s37
	s_wait_alu 0xfffe
	s_add_co_u32 s2, s38, s33
	s_add_co_ci_u32 s2, s39, s31
	s_mul_i32 s36, s35, s37
	s_add_co_ci_u32 s37, s34, 0
	s_wait_alu 0xfffe
	s_add_nc_u64 s[36:37], s[2:3], s[36:37]
	s_wait_alu 0xfffe
	v_add_co_u32 v6, s2, v4, s36
	s_delay_alu instid0(VALU_DEP_1) | instskip(SKIP_1) | instid1(VALU_DEP_1)
	s_cmp_lg_u32 s2, 0
	s_add_co_ci_u32 s2, s35, s37
	v_mul_hi_u32 v13, v7, v6
	s_wait_alu 0xfffe
	v_mad_co_u64_u32 v[4:5], null, v7, s2, 0
	v_mad_co_u64_u32 v[9:10], null, v8, v6, 0
	;; [unrolled: 1-line block ×3, first 2 shown]
	s_delay_alu instid0(VALU_DEP_3) | instskip(SKIP_1) | instid1(VALU_DEP_4)
	v_add_co_u32 v4, vcc_lo, v13, v4
	s_wait_alu 0xfffd
	v_add_co_ci_u32_e32 v5, vcc_lo, 0, v5, vcc_lo
	s_delay_alu instid0(VALU_DEP_2) | instskip(SKIP_1) | instid1(VALU_DEP_2)
	v_add_co_u32 v4, vcc_lo, v4, v9
	s_wait_alu 0xfffd
	v_add_co_ci_u32_e32 v4, vcc_lo, v5, v10, vcc_lo
	s_wait_alu 0xfffd
	v_add_co_ci_u32_e32 v5, vcc_lo, 0, v12, vcc_lo
	s_delay_alu instid0(VALU_DEP_2) | instskip(SKIP_1) | instid1(VALU_DEP_2)
	v_add_co_u32 v9, vcc_lo, v4, v11
	s_wait_alu 0xfffd
	v_add_co_ci_u32_e32 v6, vcc_lo, 0, v5, vcc_lo
	s_delay_alu instid0(VALU_DEP_2) | instskip(SKIP_1) | instid1(VALU_DEP_3)
	v_mul_lo_u32 v10, s29, v9
	v_mad_co_u64_u32 v[4:5], null, s28, v9, 0
	v_mul_lo_u32 v11, s28, v6
	s_delay_alu instid0(VALU_DEP_2) | instskip(NEXT) | instid1(VALU_DEP_2)
	v_sub_co_u32 v4, vcc_lo, v7, v4
	v_add3_u32 v5, v5, v11, v10
	s_delay_alu instid0(VALU_DEP_1) | instskip(SKIP_1) | instid1(VALU_DEP_1)
	v_sub_nc_u32_e32 v10, v8, v5
	s_wait_alu 0xfffd
	v_subrev_co_ci_u32_e64 v10, s2, s29, v10, vcc_lo
	v_add_co_u32 v11, s2, v9, 2
	s_wait_alu 0xf1ff
	v_add_co_ci_u32_e64 v12, s2, 0, v6, s2
	v_sub_co_u32 v13, s2, v4, s28
	v_sub_co_ci_u32_e32 v5, vcc_lo, v8, v5, vcc_lo
	s_wait_alu 0xf1ff
	v_subrev_co_ci_u32_e64 v10, s2, 0, v10, s2
	s_delay_alu instid0(VALU_DEP_3) | instskip(NEXT) | instid1(VALU_DEP_3)
	v_cmp_le_u32_e32 vcc_lo, s28, v13
	v_cmp_eq_u32_e64 s2, s29, v5
	s_wait_alu 0xfffd
	v_cndmask_b32_e64 v13, 0, -1, vcc_lo
	v_cmp_le_u32_e32 vcc_lo, s29, v10
	s_wait_alu 0xfffd
	v_cndmask_b32_e64 v14, 0, -1, vcc_lo
	v_cmp_le_u32_e32 vcc_lo, s28, v4
	;; [unrolled: 3-line block ×3, first 2 shown]
	s_wait_alu 0xfffd
	v_cndmask_b32_e64 v15, 0, -1, vcc_lo
	v_cmp_eq_u32_e32 vcc_lo, s29, v10
	s_wait_alu 0xf1ff
	s_delay_alu instid0(VALU_DEP_2)
	v_cndmask_b32_e64 v4, v15, v4, s2
	s_wait_alu 0xfffd
	v_cndmask_b32_e32 v10, v14, v13, vcc_lo
	v_add_co_u32 v13, vcc_lo, v9, 1
	s_wait_alu 0xfffd
	v_add_co_ci_u32_e32 v14, vcc_lo, 0, v6, vcc_lo
	s_delay_alu instid0(VALU_DEP_3) | instskip(SKIP_1) | instid1(VALU_DEP_2)
	v_cmp_ne_u32_e32 vcc_lo, 0, v10
	s_wait_alu 0xfffd
	v_dual_cndmask_b32 v5, v14, v12 :: v_dual_cndmask_b32 v10, v13, v11
	v_cmp_ne_u32_e32 vcc_lo, 0, v4
	s_wait_alu 0xfffd
	s_delay_alu instid0(VALU_DEP_2)
	v_dual_cndmask_b32 v6, v6, v5 :: v_dual_cndmask_b32 v5, v9, v10
.LBB0_4:                                ;   in Loop: Header=BB0_2 Depth=1
	s_wait_alu 0xfffe
	s_and_not1_saveexec_b32 s2, s30
	s_cbranch_execz .LBB0_6
; %bb.5:                                ;   in Loop: Header=BB0_2 Depth=1
	v_cvt_f32_u32_e32 v4, s28
	s_sub_co_i32 s30, 0, s28
	s_delay_alu instid0(VALU_DEP_1) | instskip(NEXT) | instid1(TRANS32_DEP_1)
	v_rcp_iflag_f32_e32 v4, v4
	v_mul_f32_e32 v4, 0x4f7ffffe, v4
	s_delay_alu instid0(VALU_DEP_1) | instskip(SKIP_1) | instid1(VALU_DEP_1)
	v_cvt_u32_f32_e32 v4, v4
	s_wait_alu 0xfffe
	v_mul_lo_u32 v5, s30, v4
	s_delay_alu instid0(VALU_DEP_1) | instskip(NEXT) | instid1(VALU_DEP_1)
	v_mul_hi_u32 v5, v4, v5
	v_add_nc_u32_e32 v4, v4, v5
	s_delay_alu instid0(VALU_DEP_1) | instskip(NEXT) | instid1(VALU_DEP_1)
	v_mul_hi_u32 v4, v7, v4
	v_mul_lo_u32 v5, v4, s28
	v_add_nc_u32_e32 v6, 1, v4
	s_delay_alu instid0(VALU_DEP_2) | instskip(NEXT) | instid1(VALU_DEP_1)
	v_sub_nc_u32_e32 v5, v7, v5
	v_subrev_nc_u32_e32 v9, s28, v5
	v_cmp_le_u32_e32 vcc_lo, s28, v5
	s_wait_alu 0xfffd
	s_delay_alu instid0(VALU_DEP_2) | instskip(NEXT) | instid1(VALU_DEP_1)
	v_dual_cndmask_b32 v5, v5, v9 :: v_dual_cndmask_b32 v4, v4, v6
	v_cmp_le_u32_e32 vcc_lo, s28, v5
	s_delay_alu instid0(VALU_DEP_2) | instskip(SKIP_1) | instid1(VALU_DEP_1)
	v_add_nc_u32_e32 v6, 1, v4
	s_wait_alu 0xfffd
	v_dual_cndmask_b32 v5, v4, v6 :: v_dual_mov_b32 v6, v3
.LBB0_6:                                ;   in Loop: Header=BB0_2 Depth=1
	s_wait_alu 0xfffe
	s_or_b32 exec_lo, exec_lo, s2
	s_delay_alu instid0(VALU_DEP_1) | instskip(NEXT) | instid1(VALU_DEP_2)
	v_mul_lo_u32 v4, v6, s28
	v_mul_lo_u32 v11, v5, s29
	s_load_b64 s[30:31], s[22:23], 0x0
	v_mad_co_u64_u32 v[9:10], null, v5, s28, 0
	s_load_b64 s[28:29], s[20:21], 0x0
	s_add_nc_u64 s[24:25], s[24:25], 1
	s_add_nc_u64 s[20:21], s[20:21], 8
	s_wait_alu 0xfffe
	v_cmp_ge_u64_e64 s2, s[24:25], s[10:11]
	s_add_nc_u64 s[22:23], s[22:23], 8
	s_add_nc_u64 s[26:27], s[26:27], 8
	v_add3_u32 v4, v10, v11, v4
	v_sub_co_u32 v7, vcc_lo, v7, v9
	s_wait_alu 0xfffd
	s_delay_alu instid0(VALU_DEP_2) | instskip(SKIP_2) | instid1(VALU_DEP_1)
	v_sub_co_ci_u32_e32 v4, vcc_lo, v8, v4, vcc_lo
	s_and_b32 vcc_lo, exec_lo, s2
	s_wait_kmcnt 0x0
	v_mul_lo_u32 v8, s30, v4
	v_mul_lo_u32 v9, s31, v7
	v_mad_co_u64_u32 v[61:62], null, s30, v7, v[61:62]
	v_mul_lo_u32 v4, s28, v4
	v_mul_lo_u32 v10, s29, v7
	v_mad_co_u64_u32 v[1:2], null, s28, v7, v[1:2]
	s_delay_alu instid0(VALU_DEP_4) | instskip(NEXT) | instid1(VALU_DEP_2)
	v_add3_u32 v62, v9, v62, v8
	v_add3_u32 v2, v10, v2, v4
	s_wait_alu 0xfffe
	s_cbranch_vccnz .LBB0_8
; %bb.7:                                ;   in Loop: Header=BB0_2 Depth=1
	v_dual_mov_b32 v8, v6 :: v_dual_mov_b32 v7, v5
	s_branch .LBB0_2
.LBB0_8:
	s_load_b64 s[0:1], s[0:1], 0x28
	v_mul_hi_u32 v4, 0x6906907, v0
	s_lshl_b64 s[10:11], s[10:11], 3
                                        ; implicit-def: $vgpr3
	s_wait_alu 0xfffe
	s_add_nc_u64 s[2:3], s[14:15], s[10:11]
                                        ; implicit-def: $sgpr14
	s_wait_kmcnt 0x0
	v_cmp_gt_u64_e32 vcc_lo, s[0:1], v[5:6]
	v_cmp_le_u64_e64 s0, s[0:1], v[5:6]
	s_delay_alu instid0(VALU_DEP_1)
	s_and_saveexec_b32 s1, s0
	s_wait_alu 0xfffe
	s_xor_b32 s0, exec_lo, s1
; %bb.9:
	v_mul_u32_u24_e32 v3, 39, v4
	s_mov_b32 s14, 0
                                        ; implicit-def: $vgpr4
                                        ; implicit-def: $vgpr61_vgpr62
	s_delay_alu instid0(VALU_DEP_1)
	v_sub_nc_u32_e32 v3, v0, v3
                                        ; implicit-def: $vgpr0
; %bb.10:
	s_wait_alu 0xfffe
	s_or_saveexec_b32 s1, s0
	s_load_b64 s[2:3], s[2:3], 0x0
	v_dual_mov_b32 v8, s14 :: v_dual_mov_b32 v7, s14
                                        ; implicit-def: $vgpr20
                                        ; implicit-def: $vgpr34
                                        ; implicit-def: $vgpr32
                                        ; implicit-def: $vgpr16
                                        ; implicit-def: $vgpr22
                                        ; implicit-def: $vgpr14
                                        ; implicit-def: $vgpr10
                                        ; implicit-def: $vgpr12
                                        ; implicit-def: $vgpr18
                                        ; implicit-def: $vgpr28
                                        ; implicit-def: $vgpr40
                                        ; implicit-def: $vgpr58
                                        ; implicit-def: $vgpr56
                                        ; implicit-def: $vgpr30
                                        ; implicit-def: $vgpr26
                                        ; implicit-def: $vgpr24
                                        ; implicit-def: $vgpr44
                                        ; implicit-def: $vgpr42
                                        ; implicit-def: $vgpr36
                                        ; implicit-def: $vgpr46
                                        ; implicit-def: $vgpr48
                                        ; implicit-def: $vgpr50
                                        ; implicit-def: $vgpr54
                                        ; implicit-def: $vgpr52
                                        ; implicit-def: $vgpr38
	s_xor_b32 exec_lo, exec_lo, s1
	s_cbranch_execz .LBB0_14
; %bb.11:
	v_mul_u32_u24_e32 v3, 39, v4
	s_add_nc_u64 s[10:11], s[12:13], s[10:11]
	v_lshlrev_b64_e32 v[7:8], 3, v[61:62]
	s_load_b64 s[10:11], s[10:11], 0x0
                                        ; implicit-def: $vgpr51
                                        ; implicit-def: $vgpr53
                                        ; implicit-def: $vgpr49
                                        ; implicit-def: $vgpr47
                                        ; implicit-def: $vgpr45
                                        ; implicit-def: $vgpr43
	s_delay_alu instid0(VALU_DEP_2) | instskip(NEXT) | instid1(VALU_DEP_1)
	v_sub_nc_u32_e32 v3, v0, v3
	v_mad_co_u64_u32 v[9:10], null, s18, v3, 0
	v_add_nc_u32_e32 v23, 42, v3
	v_add_nc_u32_e32 v38, 0x1a4, v3
	s_delay_alu instid0(VALU_DEP_3) | instskip(NEXT) | instid1(VALU_DEP_3)
	v_dual_mov_b32 v0, v10 :: v_dual_add_nc_u32 v41, 0x1ce, v3
	v_mad_co_u64_u32 v[11:12], null, s18, v23, 0
	v_add_nc_u32_e32 v25, 0x54, v3
	s_delay_alu instid0(VALU_DEP_3)
	v_mad_co_u64_u32 v[19:20], null, s19, v3, v[0:1]
	s_wait_kmcnt 0x0
	v_mul_lo_u32 v10, s11, v5
	v_mul_lo_u32 v24, s10, v6
	v_mov_b32_e32 v0, v12
	v_mad_co_u64_u32 v[13:14], null, s18, v25, 0
	v_add_nc_u32_e32 v27, 0xa8, v3
	v_mad_co_u64_u32 v[15:16], null, s10, v5, 0
	s_delay_alu instid0(VALU_DEP_3) | instskip(NEXT) | instid1(VALU_DEP_3)
	v_mov_b32_e32 v4, v14
	v_mad_co_u64_u32 v[21:22], null, s18, v27, 0
	v_add_nc_u32_e32 v26, 0x7e, v3
	s_delay_alu instid0(VALU_DEP_4) | instskip(SKIP_2) | instid1(VALU_DEP_4)
	v_add3_u32 v16, v16, v24, v10
	v_mad_co_u64_u32 v[23:24], null, s19, v23, v[0:1]
	v_mov_b32_e32 v10, v19
	v_mad_co_u64_u32 v[17:18], null, s18, v26, 0
	s_delay_alu instid0(VALU_DEP_4) | instskip(NEXT) | instid1(VALU_DEP_2)
	v_lshlrev_b64_e32 v[14:15], 3, v[15:16]
	v_mov_b32_e32 v12, v18
	v_mad_co_u64_u32 v[18:19], null, s19, v25, v[4:5]
	v_add_nc_u32_e32 v25, 0xfc, v3
	s_delay_alu instid0(VALU_DEP_4) | instskip(NEXT) | instid1(VALU_DEP_4)
	v_add_co_u32 v0, s0, s4, v14
	v_mad_co_u64_u32 v[19:20], null, s19, v26, v[12:13]
	s_wait_alu 0xf1ff
	v_add_co_ci_u32_e64 v4, s0, s5, v15, s0
	v_mov_b32_e32 v12, v23
	v_mad_co_u64_u32 v[23:24], null, s18, v25, 0
	v_mov_b32_e32 v14, v18
	v_lshlrev_b64_e32 v[9:10], 3, v[9:10]
	v_add_co_u32 v0, s0, v0, v7
	s_wait_alu 0xf1ff
	v_add_co_ci_u32_e64 v4, s0, v4, v8, s0
	v_lshlrev_b64_e32 v[7:8], 3, v[11:12]
	v_lshlrev_b64_e32 v[12:13], 3, v[13:14]
	v_dual_mov_b32 v18, v19 :: v_dual_mov_b32 v11, v22
	v_add_nc_u32_e32 v19, 0xd2, v3
	v_add_co_u32 v9, s0, v0, v9
	s_wait_alu 0xf1ff
	v_add_co_ci_u32_e64 v10, s0, v4, v10, s0
	v_lshlrev_b64_e32 v[14:15], 3, v[17:18]
	v_mad_co_u64_u32 v[16:17], null, s19, v27, v[11:12]
	v_add_co_u32 v7, s0, v0, v7
	v_mad_co_u64_u32 v[17:18], null, s18, v19, 0
	s_wait_alu 0xf1ff
	v_add_co_ci_u32_e64 v8, s0, v4, v8, s0
	v_add_co_u32 v11, s0, v0, v12
	s_wait_alu 0xf1ff
	v_add_co_ci_u32_e64 v12, s0, v4, v13, s0
	v_add_co_u32 v13, s0, v0, v14
	s_wait_alu 0xf1ff
	v_add_co_ci_u32_e64 v14, s0, v4, v15, s0
	v_dual_mov_b32 v15, v18 :: v_dual_add_nc_u32 v26, 0x126, v3
	v_dual_mov_b32 v22, v16 :: v_dual_add_nc_u32 v27, 0x150, v3
	s_mov_b32 s4, exec_lo
	s_delay_alu instid0(VALU_DEP_2)
	v_mad_co_u64_u32 v[18:19], null, s19, v19, v[15:16]
	s_clause 0x3
	global_load_b64 v[19:20], v[9:10], off
	global_load_b64 v[33:34], v[7:8], off
	;; [unrolled: 1-line block ×4, first 2 shown]
	v_mad_co_u64_u32 v[10:11], null, s18, v26, 0
	v_mov_b32_e32 v9, v24
	v_lshlrev_b64_e32 v[7:8], 3, v[21:22]
	s_delay_alu instid0(VALU_DEP_2) | instskip(NEXT) | instid1(VALU_DEP_4)
	v_mad_co_u64_u32 v[12:13], null, s19, v25, v[9:10]
	v_mov_b32_e32 v9, v11
	v_lshlrev_b64_e32 v[13:14], 3, v[17:18]
	s_delay_alu instid0(VALU_DEP_4)
	v_add_co_u32 v7, s0, v0, v7
	s_wait_alu 0xf1ff
	v_add_co_ci_u32_e64 v8, s0, v4, v8, s0
	v_mov_b32_e32 v24, v12
	v_mad_co_u64_u32 v[11:12], null, s19, v26, v[9:10]
	v_mad_co_u64_u32 v[17:18], null, s18, v27, 0
	v_add_co_u32 v12, s0, v0, v13
	s_wait_alu 0xf1ff
	v_add_co_ci_u32_e64 v13, s0, v4, v14, s0
	v_add_nc_u32_e32 v14, 0x17a, v3
	v_lshlrev_b64_e32 v[21:22], 3, v[23:24]
	v_lshlrev_b64_e32 v[10:11], 3, v[10:11]
	v_mov_b32_e32 v9, v18
	s_delay_alu instid0(VALU_DEP_4) | instskip(NEXT) | instid1(VALU_DEP_4)
	v_mad_co_u64_u32 v[23:24], null, s18, v14, 0
	v_add_co_u32 v25, s0, v0, v21
	s_wait_alu 0xf1ff
	v_add_co_ci_u32_e64 v26, s0, v4, v22, s0
	v_mad_co_u64_u32 v[21:22], null, s19, v27, v[9:10]
	s_delay_alu instid0(VALU_DEP_4) | instskip(SKIP_2) | instid1(VALU_DEP_3)
	v_mov_b32_e32 v9, v24
	v_mad_co_u64_u32 v[27:28], null, s18, v38, 0
	v_add_co_u32 v29, s0, v0, v10
	v_mad_co_u64_u32 v[35:36], null, s19, v14, v[9:10]
	s_wait_alu 0xf1ff
	v_add_co_ci_u32_e64 v30, s0, v4, v11, s0
	s_delay_alu instid0(VALU_DEP_4) | instskip(SKIP_3) | instid1(VALU_DEP_4)
	v_mov_b32_e32 v9, v28
	v_mad_co_u64_u32 v[36:37], null, s18, v41, 0
	v_mov_b32_e32 v18, v21
	v_mov_b32_e32 v24, v35
	v_mad_co_u64_u32 v[38:39], null, s19, v38, v[9:10]
	s_clause 0x3
	global_load_b64 v[21:22], v[7:8], off
	global_load_b64 v[13:14], v[12:13], off
	;; [unrolled: 1-line block ×4, first 2 shown]
                                        ; implicit-def: $vgpr35
	v_mov_b32_e32 v7, v37
	v_lshlrev_b64_e32 v[17:18], 3, v[17:18]
	v_lshlrev_b64_e32 v[23:24], 3, v[23:24]
	v_mov_b32_e32 v28, v38
	s_delay_alu instid0(VALU_DEP_4) | instskip(SKIP_4) | instid1(VALU_DEP_4)
	v_mad_co_u64_u32 v[7:8], null, s19, v41, v[7:8]
	v_add_nc_u32_e32 v42, 0x1f8, v3
	v_add_co_u32 v17, s0, v0, v17
	s_wait_alu 0xf1ff
	v_add_co_ci_u32_e64 v18, s0, v4, v18, s0
                                        ; implicit-def: $vgpr41
	v_mov_b32_e32 v37, v7
	v_mad_co_u64_u32 v[39:40], null, s18, v42, 0
	v_add_co_u32 v7, s0, v0, v23
	s_delay_alu instid0(VALU_DEP_2) | instskip(SKIP_1) | instid1(VALU_DEP_1)
	v_mov_b32_e32 v8, v40
	s_wait_loadcnt 0x1
	v_mad_co_u64_u32 v[25:26], null, s19, v42, v[8:9]
	v_lshlrev_b64_e32 v[26:27], 3, v[27:28]
	s_wait_alu 0xf1ff
	v_add_co_ci_u32_e64 v8, s0, v4, v24, s0
	v_lshlrev_b64_e32 v[23:24], 3, v[36:37]
                                        ; implicit-def: $vgpr37
	s_delay_alu instid0(VALU_DEP_4) | instskip(NEXT) | instid1(VALU_DEP_4)
	v_mov_b32_e32 v40, v25
	v_add_co_u32 v25, s0, v0, v26
	s_wait_alu 0xf1ff
	v_add_co_ci_u32_e64 v26, s0, v4, v27, s0
	s_delay_alu instid0(VALU_DEP_3) | instskip(SKIP_3) | instid1(VALU_DEP_3)
	v_lshlrev_b64_e32 v[27:28], 3, v[39:40]
	v_add_co_u32 v23, s0, v0, v23
	s_wait_alu 0xf1ff
	v_add_co_ci_u32_e64 v24, s0, v4, v24, s0
	v_add_co_u32 v29, s0, v0, v27
	s_wait_alu 0xf1ff
	v_add_co_ci_u32_e64 v30, s0, v4, v28, s0
	s_clause 0x4
	global_load_b64 v[17:18], v[17:18], off
	global_load_b64 v[27:28], v[7:8], off
	;; [unrolled: 1-line block ×5, first 2 shown]
	v_dual_mov_b32 v7, 0 :: v_dual_mov_b32 v8, 0
                                        ; implicit-def: $vgpr23
                                        ; implicit-def: $vgpr25
                                        ; implicit-def: $vgpr29
	v_cmpx_gt_u32_e32 3, v3
	s_cbranch_execz .LBB0_13
; %bb.12:
	v_add_nc_u32_e32 v48, 0x123, v3
	v_add_nc_u32_e32 v54, 0x1a1, v3
	;; [unrolled: 1-line block ×5, first 2 shown]
	v_mad_co_u64_u32 v[43:44], null, s18, v48, 0
	v_add_nc_u32_e32 v38, 0x7b, v3
	v_mad_co_u64_u32 v[50:51], null, s18, v54, 0
	s_delay_alu instid0(VALU_DEP_2) | instskip(SKIP_1) | instid1(VALU_DEP_1)
	v_mad_co_u64_u32 v[25:26], null, s18, v38, 0
	v_add_nc_u32_e32 v35, 39, v3
	v_mad_co_u64_u32 v[7:8], null, s18, v35, 0
	s_delay_alu instid0(VALU_DEP_1) | instskip(NEXT) | instid1(VALU_DEP_4)
	v_mad_co_u64_u32 v[35:36], null, s19, v35, v[8:9]
	v_dual_mov_b32 v8, v26 :: v_dual_add_nc_u32 v41, 0xa5, v3
	s_delay_alu instid0(VALU_DEP_1) | instskip(NEXT) | instid1(VALU_DEP_1)
	v_mad_co_u64_u32 v[29:30], null, s18, v41, 0
	v_dual_mov_b32 v26, v30 :: v_dual_add_nc_u32 v37, 0x51, v3
	s_delay_alu instid0(VALU_DEP_1) | instskip(NEXT) | instid1(VALU_DEP_1)
	v_mad_co_u64_u32 v[23:24], null, s18, v37, 0
	v_mad_co_u64_u32 v[36:37], null, s19, v37, v[24:25]
	;; [unrolled: 1-line block ×3, first 2 shown]
	v_add_nc_u32_e32 v38, 0xcf, v3
	v_mov_b32_e32 v8, v35
	s_wait_loadcnt 0x3
	v_mad_co_u64_u32 v[41:42], null, s19, v41, v[26:27]
	v_mov_b32_e32 v24, v36
	v_mad_co_u64_u32 v[35:36], null, s18, v38, 0
	v_lshlrev_b64_e32 v[7:8], 3, v[7:8]
	v_mov_b32_e32 v26, v37
	s_delay_alu instid0(VALU_DEP_4) | instskip(SKIP_1) | instid1(VALU_DEP_4)
	v_lshlrev_b64_e32 v[23:24], 3, v[23:24]
	v_mov_b32_e32 v30, v41
	v_add_co_u32 v7, s0, v0, v7
	s_delay_alu instid0(VALU_DEP_4)
	v_lshlrev_b64_e32 v[25:26], 3, v[25:26]
	v_mad_co_u64_u32 v[36:37], null, s19, v38, v[36:37]
	v_mad_co_u64_u32 v[37:38], null, s18, v45, 0
	s_wait_alu 0xf1ff
	v_add_co_ci_u32_e64 v8, s0, v4, v8, s0
	v_add_co_u32 v23, s0, v0, v23
	v_lshlrev_b64_e32 v[29:30], 3, v[29:30]
	s_wait_alu 0xf1ff
	v_add_co_ci_u32_e64 v24, s0, v4, v24, s0
	v_add_co_u32 v25, s0, v0, v25
	s_wait_alu 0xf1ff
	v_add_co_ci_u32_e64 v26, s0, v4, v26, s0
	v_add_co_u32 v41, s0, v0, v29
	v_mov_b32_e32 v29, v38
	s_wait_alu 0xf1ff
	v_add_co_ci_u32_e64 v42, s0, v4, v30, s0
	v_lshlrev_b64_e32 v[35:36], 3, v[35:36]
	s_delay_alu instid0(VALU_DEP_3)
	v_mad_co_u64_u32 v[45:46], null, s19, v45, v[29:30]
	s_clause 0x3
	global_load_b64 v[7:8], v[7:8], off
	global_load_b64 v[29:30], v[23:24], off
	;; [unrolled: 1-line block ×4, first 2 shown]
	v_mov_b32_e32 v41, v44
	v_mad_co_u64_u32 v[46:47], null, s18, v49, 0
	v_add_co_u32 v35, s0, v0, v35
	s_delay_alu instid0(VALU_DEP_3) | instskip(SKIP_1) | instid1(VALU_DEP_4)
	v_mad_co_u64_u32 v[41:42], null, s19, v48, v[41:42]
	v_dual_mov_b32 v38, v45 :: v_dual_add_nc_u32 v45, 0x177, v3
	v_mov_b32_e32 v42, v47
	s_wait_alu 0xf1ff
	v_add_co_ci_u32_e64 v36, s0, v4, v36, s0
	s_delay_alu instid0(VALU_DEP_3) | instskip(SKIP_3) | instid1(VALU_DEP_3)
	v_lshlrev_b64_e32 v[37:38], 3, v[37:38]
	v_mov_b32_e32 v44, v41
	v_mad_co_u64_u32 v[41:42], null, s19, v49, v[42:43]
	v_mad_co_u64_u32 v[48:49], null, s18, v45, 0
	v_lshlrev_b64_e32 v[42:43], 3, v[43:44]
	v_add_co_u32 v37, s0, v0, v37
	s_wait_alu 0xf1ff
	v_add_co_ci_u32_e64 v38, s0, v4, v38, s0
	v_mov_b32_e32 v47, v41
	s_delay_alu instid0(VALU_DEP_4) | instskip(SKIP_2) | instid1(VALU_DEP_3)
	v_add_co_u32 v52, s0, v0, v42
	s_wait_alu 0xf1ff
	v_add_co_ci_u32_e64 v53, s0, v4, v43, s0
	v_lshlrev_b64_e32 v[42:43], 3, v[46:47]
	v_mov_b32_e32 v41, v49
	v_add_nc_u32_e32 v47, 0x1cb, v3
	s_delay_alu instid0(VALU_DEP_2) | instskip(SKIP_1) | instid1(VALU_DEP_3)
	v_mad_co_u64_u32 v[44:45], null, s19, v45, v[41:42]
	v_mov_b32_e32 v41, v51
	v_mad_co_u64_u32 v[45:46], null, s18, v47, 0
	v_add_co_u32 v60, s0, v0, v42
	s_wait_alu 0xf1ff
	v_add_co_ci_u32_e64 v61, s0, v4, v43, s0
	v_mov_b32_e32 v49, v44
	v_mad_co_u64_u32 v[62:63], null, s19, v54, v[41:42]
	v_dual_mov_b32 v41, v46 :: v_dual_add_nc_u32 v54, 0x21f, v3
	v_mad_co_u64_u32 v[63:64], null, s18, v67, 0
	s_delay_alu instid0(VALU_DEP_4) | instskip(NEXT) | instid1(VALU_DEP_3)
	v_lshlrev_b64_e32 v[48:49], 3, v[48:49]
	v_mad_co_u64_u32 v[46:47], null, s19, v47, v[41:42]
	s_delay_alu instid0(VALU_DEP_4)
	v_mad_co_u64_u32 v[65:66], null, s18, v54, 0
	s_clause 0x3
	global_load_b64 v[43:44], v[35:36], off
	global_load_b64 v[41:42], v[37:38], off
	;; [unrolled: 1-line block ×4, first 2 shown]
	v_mov_b32_e32 v47, v64
	v_mov_b32_e32 v51, v62
	v_lshlrev_b64_e32 v[45:46], 3, v[45:46]
	s_delay_alu instid0(VALU_DEP_3)
	v_mad_co_u64_u32 v[52:53], null, s19, v67, v[47:48]
	v_mov_b32_e32 v47, v66
	v_add_co_u32 v48, s0, v0, v48
	v_lshlrev_b64_e32 v[50:51], 3, v[50:51]
	s_wait_alu 0xf1ff
	v_add_co_ci_u32_e64 v49, s0, v4, v49, s0
	s_delay_alu instid0(VALU_DEP_3) | instskip(SKIP_1) | instid1(VALU_DEP_4)
	v_mad_co_u64_u32 v[53:54], null, s19, v54, v[47:48]
	v_mov_b32_e32 v64, v52
	v_add_co_u32 v60, s0, v0, v50
	s_wait_alu 0xf1ff
	v_add_co_ci_u32_e64 v61, s0, v4, v51, s0
	s_delay_alu instid0(VALU_DEP_3) | instskip(SKIP_4) | instid1(VALU_DEP_3)
	v_lshlrev_b64_e32 v[50:51], 3, v[63:64]
	v_mov_b32_e32 v66, v53
	v_add_co_u32 v45, s0, v0, v45
	s_wait_alu 0xf1ff
	v_add_co_ci_u32_e64 v46, s0, v4, v46, s0
	v_lshlrev_b64_e32 v[52:53], 3, v[65:66]
	v_add_co_u32 v62, s0, v0, v50
	s_wait_alu 0xf1ff
	v_add_co_ci_u32_e64 v63, s0, v4, v51, s0
	s_delay_alu instid0(VALU_DEP_3)
	v_add_co_u32 v64, s0, v0, v52
	s_wait_alu 0xf1ff
	v_add_co_ci_u32_e64 v65, s0, v4, v53, s0
	s_clause 0x4
	global_load_b64 v[51:52], v[48:49], off
	global_load_b64 v[53:54], v[60:61], off
	;; [unrolled: 1-line block ×5, first 2 shown]
.LBB0_13:
	s_wait_alu 0xfffe
	s_or_b32 exec_lo, exec_lo, s4
.LBB0_14:
	s_delay_alu instid0(SALU_CYCLE_1) | instskip(SKIP_4) | instid1(VALU_DEP_3)
	s_or_b32 exec_lo, exec_lo, s1
	s_wait_loadcnt 0x0
	v_dual_add_f32 v0, v19, v33 :: v_dual_sub_f32 v61, v34, v56
	v_dual_add_f32 v60, v33, v55 :: v_dual_sub_f32 v63, v32, v58
	v_add_f32_e32 v62, v31, v57
	v_add_f32_e32 v0, v0, v31
	v_mul_hi_u32 v4, 0xaaaaaaab, v59
	s_delay_alu instid0(VALU_DEP_4) | instskip(SKIP_4) | instid1(VALU_DEP_4)
	v_mul_f32_e32 v67, 0xbeb58ec6, v60
	v_mul_f32_e32 v65, 0x3f116cb1, v60
	;; [unrolled: 1-line block ×3, first 2 shown]
	v_dual_add_f32 v0, v0, v15 :: v_dual_mul_f32 v69, 0x3f116cb1, v62
	v_sub_f32_e32 v78, v24, v50
	v_fmamk_f32 v72, v61, 0x3f52af12, v65
	v_fmac_f32_e32 v65, 0xbf52af12, v61
	v_mul_f32_e32 v66, 0x3df6dbef, v60
	v_dual_add_f32 v0, v0, v21 :: v_dual_fmamk_f32 v71, v61, 0x3eedf032, v64
	v_lshrrev_b32_e32 v4, 1, v4
	s_delay_alu instid0(VALU_DEP_4) | instskip(NEXT) | instid1(VALU_DEP_3)
	v_add_f32_e32 v65, v65, v19
	v_dual_fmamk_f32 v73, v61, 0x3f7e222b, v66 :: v_dual_add_f32 v0, v0, v13
	v_mul_f32_e32 v68, 0xbf3f9e67, v60
	s_delay_alu instid0(VALU_DEP_4) | instskip(SKIP_1) | instid1(VALU_DEP_4)
	v_lshl_add_u32 v4, v4, 1, v4
	v_add_f32_e32 v71, v71, v19
	v_dual_add_f32 v73, v73, v19 :: v_dual_add_f32 v0, v0, v9
	s_delay_alu instid0(VALU_DEP_4)
	v_fmamk_f32 v75, v61, 0x3f29c268, v68
	v_mul_f32_e32 v70, 0xbeb58ec6, v62
	v_sub_nc_u32_e32 v4, v59, v4
	v_cmp_gt_u32_e64 s1, 3, v3
	v_add_f32_e32 v0, v0, v11
	v_dual_add_f32 v75, v75, v19 :: v_dual_fmamk_f32 v74, v61, 0x3f6f5d39, v67
	v_fmamk_f32 v77, v63, 0x3f6f5d39, v70
	v_fmac_f32_e32 v67, 0xbf6f5d39, v61
	s_delay_alu instid0(VALU_DEP_4) | instskip(SKIP_2) | instid1(VALU_DEP_4)
	v_add_f32_e32 v0, v0, v17
	v_mul_f32_e32 v60, 0xbf788fa5, v60
	v_fmac_f32_e32 v70, 0xbf6f5d39, v63
	v_add_f32_e32 v67, v67, v19
	s_delay_alu instid0(VALU_DEP_4) | instskip(NEXT) | instid1(VALU_DEP_3)
	v_add_f32_e32 v0, v0, v27
	v_dual_fmamk_f32 v76, v61, 0x3e750f2a, v60 :: v_dual_add_f32 v65, v70, v65
	v_mul_f32_e32 v70, 0x3df6dbef, v62
	s_delay_alu instid0(VALU_DEP_3) | instskip(NEXT) | instid1(VALU_DEP_1)
	v_add_f32_e32 v0, v0, v39
	v_add_f32_e32 v59, v0, v57
	v_fmac_f32_e32 v66, 0xbf7e222b, v61
	v_add_f32_e32 v72, v72, v19
	v_fmac_f32_e32 v68, 0xbf29c268, v61
	v_mul_u32_u24_e32 v0, 0x222, v4
	v_add_f32_e32 v79, v59, v55
	v_mul_f32_e32 v59, 0xbf788fa5, v62
	v_fmac_f32_e32 v60, 0xbe750f2a, v61
	v_fmac_f32_e32 v64, 0xbeedf032, v61
	v_dual_fmamk_f32 v61, v63, 0x3f52af12, v69 :: v_dual_add_f32 v66, v66, v19
	v_fmac_f32_e32 v69, 0xbf52af12, v63
	v_add_f32_e32 v74, v74, v19
	s_delay_alu instid0(VALU_DEP_4) | instskip(NEXT) | instid1(VALU_DEP_4)
	v_add_f32_e32 v64, v64, v19
	v_add_f32_e32 v4, v61, v71
	v_dual_add_f32 v61, v77, v72 :: v_dual_add_f32 v68, v68, v19
	v_add_f32_e32 v76, v76, v19
	v_add_f32_e32 v19, v60, v19
	v_sub_f32_e32 v72, v16, v40
	v_add_f32_e32 v60, v69, v64
	v_mul_f32_e32 v64, 0xbf3f9e67, v62
	v_fmamk_f32 v69, v63, 0x3e750f2a, v59
	v_fmac_f32_e32 v59, 0xbe750f2a, v63
	v_dual_mul_f32 v62, 0x3f62ad3f, v62 :: v_dual_sub_f32 v77, v26, v48
	s_delay_alu instid0(VALU_DEP_4) | instskip(NEXT) | instid1(VALU_DEP_4)
	v_fmamk_f32 v71, v63, 0xbf29c268, v64
	v_add_f32_e32 v69, v69, v73
	s_delay_alu instid0(VALU_DEP_4) | instskip(NEXT) | instid1(VALU_DEP_3)
	v_add_f32_e32 v59, v59, v66
	v_add_f32_e32 v71, v71, v74
	v_fmamk_f32 v74, v63, 0xbeedf032, v62
	v_fmac_f32_e32 v62, 0x3eedf032, v63
	s_delay_alu instid0(VALU_DEP_1) | instskip(SKIP_1) | instid1(VALU_DEP_1)
	v_add_f32_e32 v19, v62, v19
	v_fmac_f32_e32 v64, 0x3f29c268, v63
	v_add_f32_e32 v64, v64, v67
	v_add_f32_e32 v67, v15, v39
	s_delay_alu instid0(VALU_DEP_1) | instskip(SKIP_2) | instid1(VALU_DEP_1)
	v_mul_f32_e32 v73, 0x3df6dbef, v67
	v_fmamk_f32 v66, v63, 0xbf7e222b, v70
	v_fmac_f32_e32 v70, 0x3f7e222b, v63
	v_dual_add_f32 v63, v70, v68 :: v_dual_mul_f32 v68, 0xbf788fa5, v67
	s_delay_alu instid0(VALU_DEP_4) | instskip(SKIP_1) | instid1(VALU_DEP_3)
	v_fmamk_f32 v70, v72, 0x3f7e222b, v73
	v_fmac_f32_e32 v73, 0xbf7e222b, v72
	v_fmamk_f32 v62, v72, 0x3e750f2a, v68
	s_delay_alu instid0(VALU_DEP_3) | instskip(SKIP_4) | instid1(VALU_DEP_4)
	v_add_f32_e32 v4, v70, v4
	v_fmac_f32_e32 v68, 0xbe750f2a, v72
	v_mul_f32_e32 v70, 0xbeb58ec6, v67
	v_dual_add_f32 v60, v73, v60 :: v_dual_mul_f32 v73, 0x3f116cb1, v67
	v_add_f32_e32 v61, v62, v61
	v_add_f32_e32 v65, v68, v65
	s_delay_alu instid0(VALU_DEP_4) | instskip(SKIP_2) | instid1(VALU_DEP_3)
	v_fmamk_f32 v68, v72, 0xbf6f5d39, v70
	v_fmac_f32_e32 v70, 0x3f6f5d39, v72
	v_mul_f32_e32 v62, 0x3f62ad3f, v67
	v_dual_mul_f32 v67, 0xbf3f9e67, v67 :: v_dual_add_f32 v68, v68, v69
	s_delay_alu instid0(VALU_DEP_3) | instskip(NEXT) | instid1(VALU_DEP_3)
	v_add_f32_e32 v59, v70, v59
	v_dual_add_f32 v66, v66, v75 :: v_dual_fmamk_f32 v75, v72, 0xbeedf032, v62
	v_fmamk_f32 v69, v72, 0x3f52af12, v73
	s_delay_alu instid0(VALU_DEP_2) | instskip(NEXT) | instid1(VALU_DEP_2)
	v_dual_fmac_f32 v73, 0xbf52af12, v72 :: v_dual_add_f32 v70, v75, v71
	v_dual_fmamk_f32 v75, v72, 0x3f29c268, v67 :: v_dual_add_f32 v66, v69, v66
	v_sub_f32_e32 v69, v22, v28
	s_delay_alu instid0(VALU_DEP_3) | instskip(SKIP_2) | instid1(VALU_DEP_3)
	v_dual_fmac_f32 v62, 0x3eedf032, v72 :: v_dual_add_f32 v63, v73, v63
	v_add_f32_e32 v74, v74, v76
	v_dual_fmac_f32 v67, 0xbf29c268, v72 :: v_dual_sub_f32 v76, v30, v46
	v_add_f32_e32 v62, v62, v64
	v_add_f32_e32 v64, v21, v27
	s_delay_alu instid0(VALU_DEP_4) | instskip(NEXT) | instid1(VALU_DEP_2)
	v_add_f32_e32 v74, v75, v74
	v_dual_add_f32 v19, v67, v19 :: v_dual_mul_f32 v72, 0xbf3f9e67, v64
	s_delay_alu instid0(VALU_DEP_1) | instskip(NEXT) | instid1(VALU_DEP_1)
	v_fmamk_f32 v67, v69, 0xbf29c268, v72
	v_add_f32_e32 v61, v67, v61
	v_mul_f32_e32 v67, 0x3df6dbef, v64
	s_delay_alu instid0(VALU_DEP_1) | instskip(SKIP_1) | instid1(VALU_DEP_1)
	v_fmamk_f32 v75, v69, 0x3f7e222b, v67
	v_fmac_f32_e32 v67, 0xbf7e222b, v69
	v_dual_mul_f32 v71, 0xbeb58ec6, v64 :: v_dual_add_f32 v62, v67, v62
	s_delay_alu instid0(VALU_DEP_1) | instskip(SKIP_2) | instid1(VALU_DEP_3)
	v_fmamk_f32 v73, v69, 0x3f6f5d39, v71
	v_fmac_f32_e32 v71, 0xbf6f5d39, v69
	v_add_f32_e32 v67, v13, v17
	v_add_f32_e32 v4, v73, v4
	v_mul_f32_e32 v73, 0x3f62ad3f, v64
	s_delay_alu instid0(VALU_DEP_1) | instskip(NEXT) | instid1(VALU_DEP_1)
	v_dual_add_f32 v60, v71, v60 :: v_dual_fmamk_f32 v71, v69, 0xbeedf032, v73
	v_dual_fmac_f32 v73, 0x3eedf032, v69 :: v_dual_add_f32 v68, v71, v68
	s_delay_alu instid0(VALU_DEP_1) | instskip(SKIP_2) | instid1(VALU_DEP_1)
	v_add_f32_e32 v59, v73, v59
	v_mul_f32_e32 v73, 0xbf3f9e67, v67
	v_fmac_f32_e32 v72, 0x3f29c268, v69
	v_dual_add_f32 v65, v72, v65 :: v_dual_mul_f32 v72, 0xbf788fa5, v64
	v_mul_f32_e32 v64, 0x3f116cb1, v64
	s_delay_alu instid0(VALU_DEP_2) | instskip(NEXT) | instid1(VALU_DEP_2)
	v_dual_add_f32 v70, v75, v70 :: v_dual_fmamk_f32 v71, v69, 0xbe750f2a, v72
	v_fmamk_f32 v75, v69, 0xbf52af12, v64
	v_fmac_f32_e32 v72, 0x3e750f2a, v69
	s_delay_alu instid0(VALU_DEP_3) | instskip(SKIP_1) | instid1(VALU_DEP_1)
	v_add_f32_e32 v66, v71, v66
	v_sub_f32_e32 v71, v14, v18
	v_dual_add_f32 v63, v72, v63 :: v_dual_fmamk_f32 v72, v71, 0x3f29c268, v73
	s_delay_alu instid0(VALU_DEP_1) | instskip(SKIP_1) | instid1(VALU_DEP_1)
	v_dual_fmac_f32 v73, 0xbf29c268, v71 :: v_dual_add_f32 v4, v72, v4
	v_mul_f32_e32 v72, 0x3f116cb1, v67
	v_dual_add_f32 v60, v73, v60 :: v_dual_fmamk_f32 v73, v71, 0x3f52af12, v72
	v_fmac_f32_e32 v72, 0xbf52af12, v71
	v_fmac_f32_e32 v64, 0x3f52af12, v69
	v_dual_mul_f32 v69, 0x3df6dbef, v67 :: v_dual_add_f32 v74, v75, v74
	s_delay_alu instid0(VALU_DEP_3) | instskip(NEXT) | instid1(VALU_DEP_2)
	v_dual_add_f32 v68, v73, v68 :: v_dual_add_f32 v59, v72, v59
	v_dual_add_f32 v19, v64, v19 :: v_dual_fmamk_f32 v64, v71, 0xbf7e222b, v69
	v_fmac_f32_e32 v69, 0x3f7e222b, v71
	v_dual_add_f32 v73, v9, v11 :: v_dual_sub_f32 v80, v10, v12
	s_delay_alu instid0(VALU_DEP_2) | instskip(SKIP_1) | instid1(VALU_DEP_3)
	v_add_f32_e32 v65, v69, v65
	v_mul_f32_e32 v69, 0x3f62ad3f, v67
	v_mul_f32_e32 v81, 0xbf788fa5, v73
	s_delay_alu instid0(VALU_DEP_2) | instskip(NEXT) | instid1(VALU_DEP_1)
	v_fmamk_f32 v72, v71, 0xbeedf032, v69
	v_dual_fmac_f32 v69, 0x3eedf032, v71 :: v_dual_add_f32 v66, v72, v66
	s_delay_alu instid0(VALU_DEP_1) | instskip(SKIP_1) | instid1(VALU_DEP_2)
	v_dual_fmamk_f32 v72, v80, 0x3e750f2a, v81 :: v_dual_add_f32 v63, v69, v63
	v_add_f32_e32 v69, v41, v51
	v_add_f32_e32 v83, v72, v4
	v_dual_add_f32 v61, v64, v61 :: v_dual_mul_f32 v64, 0xbf788fa5, v67
	v_mul_f32_e32 v4, 0xbf3f9e67, v73
	s_delay_alu instid0(VALU_DEP_2) | instskip(SKIP_1) | instid1(VALU_DEP_1)
	v_fmamk_f32 v75, v71, 0xbe750f2a, v64
	v_fmac_f32_e32 v64, 0x3e750f2a, v71
	v_add_f32_e32 v62, v64, v62
	v_mul_f32_e32 v64, 0xbeb58ec6, v67
	s_delay_alu instid0(VALU_DEP_4) | instskip(SKIP_1) | instid1(VALU_DEP_3)
	v_add_f32_e32 v70, v75, v70
	v_sub_f32_e32 v75, v36, v38
	v_fmamk_f32 v67, v71, 0x3f6f5d39, v64
	v_fmac_f32_e32 v64, 0xbf6f5d39, v71
	v_mul_f32_e32 v71, 0x3f62ad3f, v73
	s_delay_alu instid0(VALU_DEP_3) | instskip(NEXT) | instid1(VALU_DEP_3)
	v_dual_fmac_f32 v81, 0xbe750f2a, v80 :: v_dual_add_f32 v74, v67, v74
	v_add_f32_e32 v82, v64, v19
	s_delay_alu instid0(VALU_DEP_3) | instskip(SKIP_2) | instid1(VALU_DEP_3)
	v_dual_fmamk_f32 v19, v80, 0xbeedf032, v71 :: v_dual_add_f32 v64, v7, v29
	v_fmac_f32_e32 v71, 0x3eedf032, v80
	v_add_f32_e32 v67, v43, v53
	v_dual_add_f32 v84, v19, v61 :: v_dual_fmamk_f32 v19, v80, 0x3f29c268, v4
	s_delay_alu instid0(VALU_DEP_4)
	v_dual_add_f32 v61, v64, v25 :: v_dual_fmac_f32 v4, 0xbf29c268, v80
	v_mul_f32_e32 v64, 0x3f116cb1, v73
	v_add_f32_e32 v85, v71, v65
	v_add_f32_e32 v65, v29, v45
	v_sub_f32_e32 v71, v42, v52
	v_dual_add_f32 v87, v4, v59 :: v_dual_add_f32 v86, v19, v68
	v_add_f32_e32 v19, v61, v23
	v_fmamk_f32 v61, v80, 0xbf52af12, v64
	s_delay_alu instid0(VALU_DEP_2) | instskip(NEXT) | instid1(VALU_DEP_2)
	v_dual_fmac_f32 v64, 0x3f52af12, v80 :: v_dual_add_f32 v19, v19, v43
	v_add_f32_e32 v88, v61, v70
	s_delay_alu instid0(VALU_DEP_2) | instskip(NEXT) | instid1(VALU_DEP_3)
	v_dual_add_f32 v89, v64, v62 :: v_dual_add_f32 v62, v25, v47
	v_add_f32_e32 v61, v19, v41
	v_mul_f32_e32 v19, 0xbeedf032, v76
	s_delay_alu instid0(VALU_DEP_1) | instskip(SKIP_1) | instid1(VALU_DEP_1)
	v_fma_f32 v64, 0x3f62ad3f, v65, -v19
	v_mul_f32_e32 v4, 0xbeb58ec6, v73
	v_fmamk_f32 v59, v80, 0x3f6f5d39, v4
	s_delay_alu instid0(VALU_DEP_1) | instskip(SKIP_1) | instid1(VALU_DEP_1)
	v_dual_add_f32 v90, v59, v66 :: v_dual_add_f32 v59, v61, v35
	v_mul_f32_e32 v61, 0xbf52af12, v77
	v_fma_f32 v66, 0x3f116cb1, v62, -v61
	v_fmac_f32_e32 v4, 0xbf6f5d39, v80
	s_delay_alu instid0(VALU_DEP_1) | instskip(SKIP_2) | instid1(VALU_DEP_2)
	v_dual_add_f32 v91, v4, v63 :: v_dual_add_f32 v4, v59, v37
	v_add_f32_e32 v59, v7, v64
	v_dual_add_f32 v64, v23, v49 :: v_dual_mul_f32 v63, 0xbf7e222b, v78
	v_add_f32_e32 v59, v59, v66
	s_delay_alu instid0(VALU_DEP_2) | instskip(SKIP_1) | instid1(VALU_DEP_2)
	v_fma_f32 v68, 0x3df6dbef, v64, -v63
	v_dual_mul_f32 v92, 0x3df6dbef, v73 :: v_dual_sub_f32 v73, v44, v54
	v_dual_add_f32 v59, v59, v68 :: v_dual_mul_f32 v68, 0xbf29c268, v71
	s_delay_alu instid0(VALU_DEP_2) | instskip(NEXT) | instid1(VALU_DEP_1)
	v_mul_f32_e32 v66, 0xbf6f5d39, v73
	v_fma_f32 v72, 0xbeb58ec6, v67, -v66
	s_delay_alu instid0(VALU_DEP_4) | instskip(SKIP_2) | instid1(VALU_DEP_4)
	v_fmamk_f32 v70, v80, 0xbf7e222b, v92
	v_fmac_f32_e32 v92, 0x3f7e222b, v80
	v_mad_u32_u24 v80, v3, 52, 0
	v_add_f32_e32 v59, v59, v72
	s_delay_alu instid0(VALU_DEP_4) | instskip(SKIP_3) | instid1(VALU_DEP_4)
	v_dual_add_f32 v4, v51, v4 :: v_dual_add_f32 v93, v70, v74
	v_fma_f32 v74, 0xbf3f9e67, v69, -v68
	v_add_f32_e32 v72, v35, v37
	v_mul_f32_e32 v70, 0xbe750f2a, v75
	v_add_f32_e32 v4, v53, v4
	s_delay_alu instid0(VALU_DEP_4) | instskip(NEXT) | instid1(VALU_DEP_3)
	v_dual_add_f32 v94, v59, v74 :: v_dual_add_f32 v59, v81, v60
	v_fma_f32 v95, 0xbf788fa5, v72, -v70
	s_delay_alu instid0(VALU_DEP_3)
	v_add_f32_e32 v4, v49, v4
	v_lshl_add_u32 v74, v0, 2, v80
	v_add_f32_e32 v80, v92, v82
	ds_store_2addr_b32 v74, v79, v83 offset1:1
	ds_store_2addr_b32 v74, v84, v86 offset0:2 offset1:3
	ds_store_2addr_b32 v74, v88, v90 offset0:4 offset1:5
	ds_store_2addr_b32 v74, v93, v80 offset0:6 offset1:7
	ds_store_2addr_b32 v74, v91, v89 offset0:8 offset1:9
	ds_store_2addr_b32 v74, v87, v85 offset0:10 offset1:11
	ds_store_b32 v74, v59 offset:48
	v_add_f32_e32 v4, v47, v4
	s_delay_alu instid0(VALU_DEP_1)
	v_add_f32_e32 v60, v45, v4
	v_add_f32_e32 v4, v94, v95
	s_and_saveexec_b32 s0, s1
	s_cbranch_execz .LBB0_16
; %bb.15:
	v_mul_f32_e32 v87, 0xbf29c268, v78
	v_mul_f32_e32 v86, 0xbf3f9e67, v69
	;; [unrolled: 1-line block ×5, first 2 shown]
	v_fmamk_f32 v91, v64, 0xbf3f9e67, v87
	v_mul_f32_e32 v79, 0xbe750f2a, v76
	v_fma_f32 v87, 0xbf3f9e67, v64, -v87
	v_mul_f32_e32 v90, 0x3f52af12, v73
	s_delay_alu instid0(VALU_DEP_3) | instskip(NEXT) | instid1(VALU_DEP_2)
	v_dual_mul_f32 v89, 0xbf788fa5, v72 :: v_dual_fmamk_f32 v84, v65, 0xbf788fa5, v79
	v_dual_mul_f32 v81, 0x3f116cb1, v62 :: v_dual_fmamk_f32 v92, v67, 0x3f116cb1, v90
	s_delay_alu instid0(VALU_DEP_2) | instskip(NEXT) | instid1(VALU_DEP_1)
	v_dual_add_f32 v84, v7, v84 :: v_dual_mul_f32 v83, 0x3eedf032, v77
	v_fmamk_f32 v88, v62, 0x3f62ad3f, v83
	s_delay_alu instid0(VALU_DEP_1) | instskip(SKIP_1) | instid1(VALU_DEP_2)
	v_add_f32_e32 v84, v84, v88
	v_fma_f32 v83, 0x3f62ad3f, v62, -v83
	v_add_f32_e32 v84, v84, v91
	v_fma_f32 v79, 0xbf788fa5, v65, -v79
	s_delay_alu instid0(VALU_DEP_1) | instskip(SKIP_1) | instid1(VALU_DEP_2)
	v_dual_mul_f32 v80, 0x3f62ad3f, v65 :: v_dual_add_f32 v79, v7, v79
	v_mul_f32_e32 v82, 0x3df6dbef, v64
	v_add_f32_e32 v19, v19, v80
	s_delay_alu instid0(VALU_DEP_3) | instskip(SKIP_2) | instid1(VALU_DEP_3)
	v_add_f32_e32 v79, v79, v83
	v_dual_add_f32 v83, v84, v92 :: v_dual_mul_f32 v88, 0xbf6f5d39, v71
	v_mul_f32_e32 v84, 0x3f7e222b, v75
	v_add_f32_e32 v79, v79, v87
	v_fma_f32 v87, 0x3f116cb1, v67, -v90
	s_delay_alu instid0(VALU_DEP_4) | instskip(NEXT) | instid1(VALU_DEP_4)
	v_fmamk_f32 v93, v69, 0xbeb58ec6, v88
	v_fmamk_f32 v90, v72, 0x3df6dbef, v84
	s_delay_alu instid0(VALU_DEP_3) | instskip(NEXT) | instid1(VALU_DEP_3)
	v_dual_mul_f32 v92, 0x3f7e222b, v77 :: v_dual_add_f32 v79, v79, v87
	v_add_f32_e32 v83, v83, v93
	v_fma_f32 v87, 0xbeb58ec6, v69, -v88
	s_delay_alu instid0(VALU_DEP_2) | instskip(SKIP_1) | instid1(VALU_DEP_1)
	v_dual_add_f32 v83, v83, v90 :: v_dual_fmamk_f32 v90, v64, 0x3f116cb1, v95
	v_mul_f32_e32 v91, 0xbf29c268, v76
	v_dual_add_f32 v79, v79, v87 :: v_dual_fmamk_f32 v94, v65, 0xbf3f9e67, v91
	s_delay_alu instid0(VALU_DEP_1) | instskip(SKIP_2) | instid1(VALU_DEP_3)
	v_dual_add_f32 v93, v7, v94 :: v_dual_fmamk_f32 v94, v62, 0x3df6dbef, v92
	v_mul_f32_e32 v85, 0xbeb58ec6, v67
	v_fma_f32 v84, 0x3df6dbef, v72, -v84
	v_add_f32_e32 v88, v93, v94
	v_mul_f32_e32 v94, 0xbf6f5d39, v76
	s_delay_alu instid0(VALU_DEP_2) | instskip(SKIP_1) | instid1(VALU_DEP_1)
	v_dual_add_f32 v79, v79, v84 :: v_dual_add_f32 v88, v88, v90
	v_fma_f32 v87, 0xbf3f9e67, v65, -v91
	v_dual_mul_f32 v93, 0x3e750f2a, v73 :: v_dual_add_f32 v84, v7, v87
	v_fma_f32 v87, 0x3df6dbef, v62, -v92
	s_delay_alu instid0(VALU_DEP_2) | instskip(NEXT) | instid1(VALU_DEP_2)
	v_fmamk_f32 v90, v67, 0xbf788fa5, v93
	v_add_f32_e32 v84, v84, v87
	v_fma_f32 v87, 0x3f116cb1, v64, -v95
	s_delay_alu instid0(VALU_DEP_3) | instskip(SKIP_1) | instid1(VALU_DEP_3)
	v_dual_add_f32 v88, v88, v90 :: v_dual_fmamk_f32 v95, v65, 0xbeb58ec6, v94
	v_mul_f32_e32 v91, 0x3eedf032, v71
	v_add_f32_e32 v84, v84, v87
	v_fma_f32 v87, 0xbf788fa5, v67, -v93
	v_fmamk_f32 v93, v62, 0xbf3f9e67, v96
	v_fma_f32 v96, 0xbf3f9e67, v62, -v96
	s_delay_alu instid0(VALU_DEP_3) | instskip(SKIP_1) | instid1(VALU_DEP_1)
	v_add_f32_e32 v84, v84, v87
	v_fma_f32 v87, 0xbeb58ec6, v65, -v94
	v_dual_mul_f32 v94, 0xbf7e222b, v73 :: v_dual_add_f32 v87, v7, v87
	s_delay_alu instid0(VALU_DEP_1) | instskip(NEXT) | instid1(VALU_DEP_1)
	v_dual_fmamk_f32 v90, v69, 0x3f62ad3f, v91 :: v_dual_add_f32 v87, v87, v96
	v_add_f32_e32 v88, v88, v90
	v_fma_f32 v91, 0x3f62ad3f, v69, -v91
	v_mul_f32_e32 v96, 0x3f52af12, v75
	s_delay_alu instid0(VALU_DEP_2) | instskip(SKIP_2) | instid1(VALU_DEP_1)
	v_dual_add_f32 v84, v84, v91 :: v_dual_fmamk_f32 v91, v67, 0x3df6dbef, v94
	v_fma_f32 v94, 0x3df6dbef, v67, -v94
	v_mul_f32_e32 v92, 0xbf6f5d39, v75
	v_fmamk_f32 v90, v72, 0xbeb58ec6, v92
	s_delay_alu instid0(VALU_DEP_1) | instskip(SKIP_1) | instid1(VALU_DEP_1)
	v_add_f32_e32 v88, v88, v90
	v_dual_add_f32 v90, v7, v95 :: v_dual_mul_f32 v95, 0x3eedf032, v78
	v_dual_add_f32 v90, v90, v93 :: v_dual_fmamk_f32 v93, v64, 0x3f62ad3f, v95
	v_fma_f32 v95, 0x3f62ad3f, v64, -v95
	s_delay_alu instid0(VALU_DEP_2) | instskip(NEXT) | instid1(VALU_DEP_2)
	v_dual_add_f32 v90, v90, v93 :: v_dual_mul_f32 v93, 0x3e750f2a, v71
	v_add_f32_e32 v87, v87, v95
	s_delay_alu instid0(VALU_DEP_2) | instskip(NEXT) | instid1(VALU_DEP_3)
	v_dual_mul_f32 v95, 0xbe750f2a, v77 :: v_dual_add_f32 v90, v90, v91
	v_fmamk_f32 v91, v69, 0xbf788fa5, v93
	s_delay_alu instid0(VALU_DEP_3) | instskip(SKIP_2) | instid1(VALU_DEP_4)
	v_add_f32_e32 v87, v87, v94
	v_fma_f32 v92, 0xbeb58ec6, v72, -v92
	v_fma_f32 v93, 0xbf788fa5, v69, -v93
	v_dual_add_f32 v90, v90, v91 :: v_dual_fmamk_f32 v91, v72, 0x3f116cb1, v96
	s_delay_alu instid0(VALU_DEP_3) | instskip(NEXT) | instid1(VALU_DEP_3)
	v_add_f32_e32 v84, v84, v92
	v_dual_mul_f32 v92, 0xbf7e222b, v76 :: v_dual_add_f32 v87, v87, v93
	v_fmamk_f32 v93, v62, 0xbf788fa5, v95
	s_delay_alu instid0(VALU_DEP_4) | instskip(SKIP_1) | instid1(VALU_DEP_4)
	v_add_f32_e32 v90, v90, v91
	v_fma_f32 v95, 0xbf788fa5, v62, -v95
	v_fmamk_f32 v94, v65, 0x3df6dbef, v92
	v_fma_f32 v91, 0x3df6dbef, v65, -v92
	v_mul_f32_e32 v76, 0xbf52af12, v76
	s_delay_alu instid0(VALU_DEP_3) | instskip(NEXT) | instid1(VALU_DEP_3)
	v_add_f32_e32 v92, v7, v94
	v_dual_mul_f32 v94, 0x3f6f5d39, v78 :: v_dual_add_f32 v91, v7, v91
	s_delay_alu instid0(VALU_DEP_2) | instskip(NEXT) | instid1(VALU_DEP_2)
	v_add_f32_e32 v92, v92, v93
	v_fmamk_f32 v93, v64, 0xbeb58ec6, v94
	s_delay_alu instid0(VALU_DEP_3) | instskip(SKIP_1) | instid1(VALU_DEP_3)
	v_add_f32_e32 v91, v91, v95
	v_fma_f32 v94, 0xbeb58ec6, v64, -v94
	v_dual_mul_f32 v95, 0xbf52af12, v71 :: v_dual_add_f32 v92, v92, v93
	s_delay_alu instid0(VALU_DEP_2) | instskip(SKIP_2) | instid1(VALU_DEP_2)
	v_add_f32_e32 v91, v91, v94
	v_fma_f32 v96, 0x3f116cb1, v72, -v96
	v_fma_f32 v94, 0x3f62ad3f, v67, -v97
	v_dual_add_f32 v87, v87, v96 :: v_dual_mul_f32 v96, 0xbf29c268, v75
	s_delay_alu instid0(VALU_DEP_2) | instskip(SKIP_1) | instid1(VALU_DEP_2)
	v_dual_add_f32 v91, v91, v94 :: v_dual_fmamk_f32 v94, v65, 0x3f116cb1, v76
	v_fma_f32 v65, 0x3f116cb1, v65, -v76
	v_add_f32_e32 v94, v7, v94
	v_fmamk_f32 v93, v67, 0x3f62ad3f, v97
	s_delay_alu instid0(VALU_DEP_3)
	v_add_f32_e32 v65, v7, v65
	v_add_f32_e32 v7, v7, v19
	v_mul_f32_e32 v77, 0xbf6f5d39, v77
	v_add_f32_e32 v19, v61, v81
	v_dual_add_f32 v92, v92, v93 :: v_dual_fmamk_f32 v93, v69, 0x3f116cb1, v95
	v_fma_f32 v95, 0x3f116cb1, v69, -v95
	s_delay_alu instid0(VALU_DEP_4) | instskip(SKIP_1) | instid1(VALU_DEP_4)
	v_fmamk_f32 v97, v62, 0xbeb58ec6, v77
	v_fma_f32 v62, 0xbeb58ec6, v62, -v77
	v_dual_add_f32 v7, v7, v19 :: v_dual_add_f32 v92, v92, v93
	s_delay_alu instid0(VALU_DEP_3) | instskip(SKIP_1) | instid1(VALU_DEP_4)
	v_dual_fmamk_f32 v93, v72, 0xbf3f9e67, v96 :: v_dual_add_f32 v76, v94, v97
	v_mul_f32_e32 v78, 0xbe750f2a, v78
	v_add_f32_e32 v62, v65, v62
	v_add_f32_e32 v19, v63, v82
	;; [unrolled: 1-line block ×3, first 2 shown]
	v_fma_f32 v95, 0xbf3f9e67, v72, -v96
	s_delay_alu instid0(VALU_DEP_3) | instskip(SKIP_1) | instid1(VALU_DEP_2)
	v_dual_fmamk_f32 v80, v64, 0xbf788fa5, v78 :: v_dual_add_f32 v7, v7, v19
	v_dual_add_f32 v19, v66, v85 :: v_dual_mul_f32 v66, 0x3eedf032, v75
	v_add_f32_e32 v61, v76, v80
	v_fma_f32 v64, 0xbf788fa5, v64, -v78
	s_delay_alu instid0(VALU_DEP_1) | instskip(NEXT) | instid1(VALU_DEP_1)
	v_dual_mul_f32 v73, 0x3f29c268, v73 :: v_dual_add_f32 v62, v62, v64
	v_fmamk_f32 v76, v67, 0xbf3f9e67, v73
	v_fma_f32 v64, 0xbf3f9e67, v67, -v73
	v_mul_f32_e32 v63, 0x3f7e222b, v71
	v_add_nc_u32_e32 v67, 0x804, v74
	s_delay_alu instid0(VALU_DEP_4) | instskip(NEXT) | instid1(VALU_DEP_3)
	v_add_f32_e32 v61, v61, v76
	v_dual_add_f32 v62, v62, v64 :: v_dual_fmamk_f32 v65, v69, 0x3df6dbef, v63
	v_fma_f32 v63, 0x3df6dbef, v69, -v63
	v_dual_fmamk_f32 v64, v72, 0x3f62ad3f, v66 :: v_dual_add_f32 v7, v7, v19
	v_add_f32_e32 v19, v68, v86
	v_add_nc_u32_e32 v68, 0x80c, v74
	s_delay_alu instid0(VALU_DEP_4) | instskip(SKIP_3) | instid1(VALU_DEP_3)
	v_add_f32_e32 v62, v62, v63
	v_fma_f32 v63, 0x3f62ad3f, v72, -v66
	v_dual_add_f32 v66, v91, v95 :: v_dual_add_f32 v61, v61, v65
	v_add_f32_e32 v65, v92, v93
	v_dual_add_f32 v62, v62, v63 :: v_dual_add_nc_u32 v69, 0x814, v74
	v_add_nc_u32_e32 v63, 0x7f4, v74
	s_delay_alu instid0(VALU_DEP_4) | instskip(SKIP_2) | instid1(VALU_DEP_1)
	v_dual_add_f32 v61, v61, v64 :: v_dual_add_nc_u32 v64, 0x7fc, v74
	v_add_f32_e32 v7, v7, v19
	v_add_f32_e32 v19, v70, v89
	;; [unrolled: 1-line block ×3, first 2 shown]
	v_add_nc_u32_e32 v19, 0x7ec, v74
	ds_store_2addr_b32 v63, v62, v66 offset1:1
	ds_store_2addr_b32 v64, v87, v84 offset1:1
	;; [unrolled: 1-line block ×6, first 2 shown]
	ds_store_b32 v74, v7 offset:2076
.LBB0_16:
	s_wait_alu 0xfffe
	s_or_b32 exec_lo, exec_lo, s0
	v_lshlrev_b32_e32 v72, 2, v0
	v_lshlrev_b32_e32 v19, 2, v3
	global_wb scope:SCOPE_SE
	s_wait_dscnt 0x0
	s_wait_kmcnt 0x0
	s_barrier_signal -1
	s_barrier_wait -1
	global_inv scope:SCOPE_SE
	v_add3_u32 v0, 0, v19, v72
	v_add3_u32 v71, 0, v72, v19
	v_cmp_gt_u32_e64 s0, 26, v3
	s_delay_alu instid0(VALU_DEP_3)
	v_add_nc_u32_e32 v67, 0x400, v0
	v_add_nc_u32_e32 v7, 0x200, v0
	ds_load_2addr_b32 v[61:62], v0 offset0:117 offset1:182
	ds_load_2addr_b32 v[63:64], v0 offset0:39 offset1:78
	;; [unrolled: 1-line block ×5, first 2 shown]
	ds_load_b32 v19, v71
	ds_load_b32 v73, v0 offset:1924
	s_and_saveexec_b32 s4, s0
	s_cbranch_execz .LBB0_18
; %bb.17:
	ds_load_2addr_b32 v[59:60], v7 offset0:28 offset1:210
	ds_load_b32 v4, v0 offset:2080
.LBB0_18:
	s_wait_alu 0xfffe
	s_or_b32 exec_lo, exec_lo, s4
	v_dual_add_f32 v7, v20, v34 :: v_dual_add_f32 v34, v34, v56
	v_sub_f32_e32 v33, v33, v55
	v_sub_f32_e32 v31, v31, v57
	;; [unrolled: 1-line block ×4, first 2 shown]
	global_wb scope:SCOPE_SE
	s_wait_dscnt 0x0
	v_mul_f32_e32 v57, 0xbf52af12, v33
	s_barrier_signal -1
	s_barrier_wait -1
	global_inv scope:SCOPE_SE
	v_dual_fmamk_f32 v82, v34, 0x3f116cb1, v57 :: v_dual_add_f32 v7, v7, v32
	v_dual_mul_f32 v76, 0xbf6f5d39, v33 :: v_dual_add_f32 v55, v32, v58
	v_mul_f32_e32 v32, 0xbeedf032, v33
	s_delay_alu instid0(VALU_DEP_3) | instskip(NEXT) | instid1(VALU_DEP_3)
	v_dual_mul_f32 v77, 0xbf29c268, v33 :: v_dual_add_f32 v82, v82, v20
	v_dual_fmamk_f32 v84, v34, 0xbeb58ec6, v76 :: v_dual_add_f32 v7, v7, v16
	v_mul_f32_e32 v80, 0xbe750f2a, v31
	s_delay_alu instid0(VALU_DEP_4)
	v_fmamk_f32 v81, v34, 0x3f62ad3f, v32
	v_fma_f32 v32, 0x3f62ad3f, v34, -v32
	v_mul_f32_e32 v75, 0xbf7e222b, v33
	v_dual_mul_f32 v33, 0xbe750f2a, v33 :: v_dual_add_f32 v84, v84, v20
	v_dual_add_f32 v7, v7, v22 :: v_dual_mul_f32 v78, 0xbf52af12, v31
	v_fma_f32 v76, 0xbeb58ec6, v34, -v76
	s_delay_alu instid0(VALU_DEP_3) | instskip(SKIP_1) | instid1(VALU_DEP_4)
	v_fmamk_f32 v86, v34, 0xbf788fa5, v33
	v_mul_f32_e32 v79, 0xbf6f5d39, v31
	v_add_f32_e32 v7, v7, v14
	v_fma_f32 v57, 0x3f116cb1, v34, -v57
	v_fmamk_f32 v85, v34, 0xbf3f9e67, v77
	v_fma_f32 v77, 0xbf3f9e67, v34, -v77
	v_fma_f32 v33, 0xbf788fa5, v34, -v33
	v_add_f32_e32 v32, v32, v20
	v_dual_add_f32 v76, v76, v20 :: v_dual_fmamk_f32 v87, v55, 0xbeb58ec6, v79
	v_fmamk_f32 v83, v34, 0x3df6dbef, v75
	v_fma_f32 v75, 0x3df6dbef, v34, -v75
	v_dual_fmamk_f32 v34, v55, 0x3f116cb1, v78 :: v_dual_add_f32 v81, v81, v20
	v_fma_f32 v78, 0x3f116cb1, v55, -v78
	v_dual_add_f32 v86, v86, v20 :: v_dual_add_f32 v7, v7, v10
	v_add_f32_e32 v22, v22, v28
	v_add_f32_e32 v83, v83, v20
	s_delay_alu instid0(VALU_DEP_4)
	v_add_f32_e32 v32, v78, v32
	v_add_f32_e32 v16, v16, v40
	;; [unrolled: 1-line block ×3, first 2 shown]
	v_fma_f32 v79, 0xbeb58ec6, v55, -v79
	v_add_f32_e32 v57, v57, v20
	v_add_f32_e32 v75, v75, v20
	v_fma_f32 v78, 0xbf788fa5, v55, -v80
	v_add_f32_e32 v7, v7, v18
	v_dual_add_f32 v14, v14, v18 :: v_dual_sub_f32 v13, v13, v17
	v_dual_mul_f32 v17, 0x3f52af12, v21 :: v_dual_add_f32 v10, v10, v12
	s_delay_alu instid0(VALU_DEP_3) | instskip(NEXT) | instid1(VALU_DEP_3)
	v_dual_add_f32 v7, v7, v28 :: v_dual_mul_f32 v28, 0xbf6f5d39, v21
	v_dual_mul_f32 v18, 0xbf29c268, v13 :: v_dual_sub_f32 v11, v9, v11
	v_sub_f32_e32 v29, v29, v45
	s_delay_alu instid0(VALU_DEP_3) | instskip(NEXT) | instid1(VALU_DEP_1)
	v_dual_add_f32 v7, v7, v40 :: v_dual_mul_f32 v40, 0xbf7e222b, v15
	v_dual_mul_f32 v12, 0xbe750f2a, v11 :: v_dual_add_f32 v7, v7, v58
	v_fmamk_f32 v58, v55, 0xbf788fa5, v80
	v_add_f32_e32 v57, v79, v57
	v_mul_f32_e32 v79, 0x3f7e222b, v31
	v_add_f32_e32 v77, v77, v20
	v_dual_add_f32 v56, v7, v56 :: v_dual_mul_f32 v7, 0x3f29c268, v31
	v_add_f32_e32 v85, v85, v20
	v_dual_mul_f32 v31, 0x3eedf032, v31 :: v_dual_add_f32 v20, v33, v20
	s_delay_alu instid0(VALU_DEP_3) | instskip(NEXT) | instid1(VALU_DEP_1)
	v_dual_add_f32 v33, v34, v81 :: v_dual_fmamk_f32 v80, v55, 0xbf3f9e67, v7
	v_dual_add_f32 v80, v80, v84 :: v_dual_add_f32 v75, v78, v75
	v_fmamk_f32 v78, v55, 0x3df6dbef, v79
	s_delay_alu instid0(VALU_DEP_1) | instskip(SKIP_2) | instid1(VALU_DEP_2)
	v_dual_add_f32 v34, v87, v82 :: v_dual_add_f32 v39, v78, v85
	v_fmamk_f32 v78, v55, 0x3f62ad3f, v31
	v_fma_f32 v31, 0x3f62ad3f, v55, -v31
	v_add_f32_e32 v78, v78, v86
	s_delay_alu instid0(VALU_DEP_2) | instskip(SKIP_2) | instid1(VALU_DEP_2)
	v_add_f32_e32 v20, v31, v20
	v_fma_f32 v7, 0xbf3f9e67, v55, -v7
	v_fma_f32 v31, 0x3df6dbef, v16, -v40
	v_add_f32_e32 v7, v7, v76
	v_fma_f32 v76, 0x3df6dbef, v55, -v79
	s_delay_alu instid0(VALU_DEP_3) | instskip(NEXT) | instid1(VALU_DEP_2)
	v_add_f32_e32 v31, v31, v32
	v_dual_add_f32 v55, v76, v77 :: v_dual_mul_f32 v76, 0xbe750f2a, v15
	v_dual_fmamk_f32 v77, v16, 0x3df6dbef, v40 :: v_dual_add_f32 v58, v58, v83
	s_delay_alu instid0(VALU_DEP_2) | instskip(SKIP_1) | instid1(VALU_DEP_2)
	v_fmamk_f32 v40, v16, 0xbf788fa5, v76
	v_fma_f32 v76, 0xbf788fa5, v16, -v76
	v_add_f32_e32 v32, v40, v34
	s_delay_alu instid0(VALU_DEP_2) | instskip(SKIP_3) | instid1(VALU_DEP_2)
	v_add_f32_e32 v40, v76, v57
	v_add_f32_e32 v33, v77, v33
	v_mul_f32_e32 v77, 0x3f6f5d39, v15
	v_mul_f32_e32 v34, 0x3eedf032, v15
	v_fmamk_f32 v57, v16, 0xbeb58ec6, v77
	v_fma_f32 v76, 0xbeb58ec6, v16, -v77
	s_delay_alu instid0(VALU_DEP_3) | instskip(SKIP_1) | instid1(VALU_DEP_3)
	v_fmamk_f32 v79, v16, 0x3f62ad3f, v34
	v_fma_f32 v34, 0x3f62ad3f, v16, -v34
	v_dual_add_f32 v57, v57, v58 :: v_dual_add_f32 v58, v76, v75
	v_mul_f32_e32 v77, 0xbf52af12, v15
	s_delay_alu instid0(VALU_DEP_3) | instskip(SKIP_1) | instid1(VALU_DEP_3)
	v_add_f32_e32 v7, v34, v7
	v_mul_f32_e32 v15, 0xbf29c268, v15
	v_fmamk_f32 v75, v16, 0x3f116cb1, v77
	v_fma_f32 v34, 0x3f116cb1, v16, -v77
	s_delay_alu instid0(VALU_DEP_2) | instskip(NEXT) | instid1(VALU_DEP_4)
	v_add_f32_e32 v27, v75, v39
	v_fmamk_f32 v39, v16, 0xbf3f9e67, v15
	v_fma_f32 v15, 0xbf3f9e67, v16, -v15
	s_delay_alu instid0(VALU_DEP_4) | instskip(SKIP_2) | instid1(VALU_DEP_4)
	v_add_f32_e32 v16, v34, v55
	v_mul_f32_e32 v34, 0x3f29c268, v21
	v_fmamk_f32 v55, v22, 0xbeb58ec6, v28
	v_add_f32_e32 v15, v15, v20
	v_fma_f32 v20, 0xbeb58ec6, v22, -v28
	s_delay_alu instid0(VALU_DEP_4) | instskip(SKIP_1) | instid1(VALU_DEP_3)
	v_fmamk_f32 v28, v22, 0xbf3f9e67, v34
	v_fma_f32 v34, 0xbf3f9e67, v22, -v34
	v_add_f32_e32 v20, v20, v31
	s_delay_alu instid0(VALU_DEP_3) | instskip(NEXT) | instid1(VALU_DEP_3)
	v_add_f32_e32 v28, v28, v32
	v_dual_add_f32 v32, v34, v40 :: v_dual_add_f32 v33, v55, v33
	v_mul_f32_e32 v55, 0x3eedf032, v21
	v_mul_f32_e32 v31, 0xbf7e222b, v21
	s_delay_alu instid0(VALU_DEP_2) | instskip(SKIP_2) | instid1(VALU_DEP_4)
	v_fmamk_f32 v34, v22, 0x3f62ad3f, v55
	v_fma_f32 v40, 0x3f62ad3f, v22, -v55
	v_mul_f32_e32 v55, 0x3e750f2a, v21
	v_fmamk_f32 v75, v22, 0x3df6dbef, v31
	v_fma_f32 v31, 0x3df6dbef, v22, -v31
	v_add_f32_e32 v34, v34, v57
	s_delay_alu instid0(VALU_DEP_4) | instskip(NEXT) | instid1(VALU_DEP_1)
	v_dual_add_f32 v76, v79, v80 :: v_dual_fmamk_f32 v57, v22, 0xbf788fa5, v55
	v_dual_add_f32 v40, v40, v58 :: v_dual_add_f32 v21, v57, v27
	v_fma_f32 v27, 0xbf788fa5, v22, -v55
	s_delay_alu instid0(VALU_DEP_1) | instskip(NEXT) | instid1(VALU_DEP_1)
	v_dual_add_f32 v16, v27, v16 :: v_dual_fmamk_f32 v27, v14, 0xbf3f9e67, v18
	v_add_f32_e32 v27, v27, v33
	v_mul_f32_e32 v33, 0xbf52af12, v13
	v_add_f32_e32 v7, v31, v7
	v_fmamk_f32 v31, v22, 0x3f116cb1, v17
	v_fma_f32 v17, 0x3f116cb1, v22, -v17
	s_delay_alu instid0(VALU_DEP_1) | instskip(SKIP_1) | instid1(VALU_DEP_2)
	v_dual_mul_f32 v22, 0x3f7e222b, v13 :: v_dual_add_f32 v15, v17, v15
	v_fma_f32 v17, 0xbf3f9e67, v14, -v18
	v_fmamk_f32 v18, v14, 0x3df6dbef, v22
	v_fma_f32 v22, 0x3df6dbef, v14, -v22
	s_delay_alu instid0(VALU_DEP_3) | instskip(NEXT) | instid1(VALU_DEP_3)
	v_add_f32_e32 v17, v17, v20
	v_add_f32_e32 v18, v18, v28
	v_fmamk_f32 v28, v14, 0x3f116cb1, v33
	s_delay_alu instid0(VALU_DEP_4) | instskip(SKIP_1) | instid1(VALU_DEP_3)
	v_add_f32_e32 v22, v22, v32
	v_fma_f32 v32, 0x3f116cb1, v14, -v33
	v_dual_mul_f32 v33, 0x3eedf032, v13 :: v_dual_add_f32 v28, v28, v34
	s_delay_alu instid0(VALU_DEP_2) | instskip(NEXT) | instid1(VALU_DEP_2)
	v_add_f32_e32 v32, v32, v40
	v_dual_fmamk_f32 v34, v14, 0x3f62ad3f, v33 :: v_dual_add_f32 v39, v39, v78
	v_mul_f32_e32 v20, 0x3e750f2a, v13
	v_mul_f32_e32 v13, 0xbf6f5d39, v13
	v_fma_f32 v9, 0x3f62ad3f, v14, -v33
	s_delay_alu instid0(VALU_DEP_4) | instskip(NEXT) | instid1(VALU_DEP_4)
	v_add_f32_e32 v31, v31, v39
	v_fmamk_f32 v39, v14, 0xbf788fa5, v20
	v_fma_f32 v20, 0xbf788fa5, v14, -v20
	s_delay_alu instid0(VALU_DEP_4)
	v_add_f32_e32 v33, v9, v16
	v_fmamk_f32 v9, v10, 0xbf788fa5, v12
	v_fma_f32 v12, 0xbf788fa5, v10, -v12
	v_mul_f32_e32 v16, 0xbf29c268, v11
	v_dual_add_f32 v7, v20, v7 :: v_dual_add_f32 v20, v34, v21
	v_fmamk_f32 v21, v14, 0xbeb58ec6, v13
	v_fma_f32 v13, 0xbeb58ec6, v14, -v13
	v_mul_f32_e32 v14, 0x3eedf032, v11
	v_dual_add_f32 v34, v9, v27 :: v_dual_add_f32 v9, v12, v17
	s_delay_alu instid0(VALU_DEP_4) | instskip(NEXT) | instid1(VALU_DEP_4)
	v_add_f32_e32 v21, v21, v31
	v_add_f32_e32 v31, v13, v15
	;; [unrolled: 1-line block ×3, first 2 shown]
	v_fmamk_f32 v15, v10, 0x3f62ad3f, v14
	v_sub_f32_e32 v27, v25, v47
	s_delay_alu instid0(VALU_DEP_3) | instskip(NEXT) | instid1(VALU_DEP_3)
	v_dual_add_f32 v25, v26, v48 :: v_dual_add_f32 v12, v13, v26
	v_add_f32_e32 v40, v15, v18
	v_add_f32_e32 v58, v75, v76
	v_fma_f32 v13, 0x3f62ad3f, v10, -v14
	v_fmamk_f32 v14, v10, 0xbf3f9e67, v16
	v_dual_add_f32 v12, v12, v24 :: v_dual_mul_f32 v15, 0x3f52af12, v11
	v_fma_f32 v16, 0xbf3f9e67, v10, -v16
	s_delay_alu instid0(VALU_DEP_4) | instskip(NEXT) | instid1(VALU_DEP_3)
	v_dual_add_f32 v55, v13, v22 :: v_dual_sub_f32 v22, v23, v49
	v_dual_add_f32 v39, v39, v58 :: v_dual_add_f32 v12, v12, v44
	v_add_f32_e32 v57, v14, v28
	v_fma_f32 v14, 0x3f116cb1, v10, -v15
	v_add_f32_e32 v28, v30, v46
	v_mul_f32_e32 v30, 0xbeedf032, v29
	v_dual_add_f32 v12, v12, v42 :: v_dual_fmamk_f32 v13, v10, 0x3f116cb1, v15
	s_delay_alu instid0(VALU_DEP_4) | instskip(SKIP_2) | instid1(VALU_DEP_4)
	v_add_f32_e32 v45, v14, v7
	v_mul_f32_e32 v7, 0xbf6f5d39, v11
	v_mul_f32_e32 v26, 0xbf52af12, v27
	v_add_f32_e32 v12, v12, v36
	v_add_f32_e32 v32, v16, v32
	;; [unrolled: 1-line block ×3, first 2 shown]
	v_fmamk_f32 v14, v10, 0xbeb58ec6, v7
	s_delay_alu instid0(VALU_DEP_4) | instskip(SKIP_1) | instid1(VALU_DEP_3)
	v_dual_fmamk_f32 v15, v25, 0x3f116cb1, v26 :: v_dual_add_f32 v12, v12, v38
	v_mul_f32_e32 v24, 0xbf7e222b, v22
	v_dual_sub_f32 v16, v43, v53 :: v_dual_add_f32 v47, v14, v20
	v_fma_f32 v20, 0xbeb58ec6, v10, -v7
	s_delay_alu instid0(VALU_DEP_3) | instskip(NEXT) | instid1(VALU_DEP_3)
	v_dual_add_f32 v12, v52, v12 :: v_dual_fmamk_f32 v17, v18, 0x3df6dbef, v24
	v_mul_f32_e32 v23, 0xbf6f5d39, v16
	s_delay_alu instid0(VALU_DEP_3) | instskip(NEXT) | instid1(VALU_DEP_3)
	v_add_f32_e32 v33, v20, v33
	v_add_f32_e32 v7, v54, v12
	;; [unrolled: 1-line block ×3, first 2 shown]
	v_dual_mul_f32 v42, 0x3f7e222b, v11 :: v_dual_sub_f32 v11, v35, v37
	s_delay_alu instid0(VALU_DEP_3) | instskip(SKIP_1) | instid1(VALU_DEP_3)
	v_add_f32_e32 v35, v50, v7
	v_add_f32_e32 v7, v36, v38
	v_dual_add_f32 v39, v13, v39 :: v_dual_fmamk_f32 v36, v10, 0x3df6dbef, v42
	v_fma_f32 v10, 0x3df6dbef, v10, -v42
	s_delay_alu instid0(VALU_DEP_4) | instskip(SKIP_1) | instid1(VALU_DEP_4)
	v_add_f32_e32 v35, v48, v35
	v_fmamk_f32 v13, v28, 0x3f62ad3f, v30
	v_dual_add_f32 v36, v36, v21 :: v_dual_add_nc_u32 v21, 39, v3
	s_delay_alu instid0(VALU_DEP_2) | instskip(NEXT) | instid1(VALU_DEP_1)
	v_add_f32_e32 v13, v8, v13
	v_dual_add_f32 v14, v13, v15 :: v_dual_add_f32 v15, v44, v54
	s_delay_alu instid0(VALU_DEP_1) | instskip(NEXT) | instid1(VALU_DEP_2)
	v_dual_sub_f32 v13, v41, v51 :: v_dual_add_f32 v14, v14, v17
	v_fmamk_f32 v41, v15, 0xbeb58ec6, v23
	s_delay_alu instid0(VALU_DEP_2) | instskip(SKIP_2) | instid1(VALU_DEP_4)
	v_mul_f32_e32 v17, 0xbf29c268, v13
	v_add_f32_e32 v31, v10, v31
	v_add_f32_e32 v10, v46, v35
	;; [unrolled: 1-line block ×3, first 2 shown]
	s_delay_alu instid0(VALU_DEP_4) | instskip(NEXT) | instid1(VALU_DEP_1)
	v_fmamk_f32 v41, v12, 0xbf3f9e67, v17
	v_dual_mul_f32 v14, 0xbe750f2a, v11 :: v_dual_add_f32 v37, v37, v41
	s_delay_alu instid0(VALU_DEP_1)
	v_fmamk_f32 v38, v7, 0xbf788fa5, v14
	ds_store_2addr_b32 v74, v56, v34 offset1:1
	ds_store_2addr_b32 v74, v40, v57 offset0:2 offset1:3
	ds_store_2addr_b32 v74, v39, v47 offset0:4 offset1:5
	;; [unrolled: 1-line block ×5, first 2 shown]
	ds_store_b32 v74, v9 offset:48
	v_add_f32_e32 v20, v37, v38
	s_and_saveexec_b32 s4, s1
	s_cbranch_execz .LBB0_20
; %bb.19:
	v_mul_f32_e32 v31, 0x3f62ad3f, v28
	v_mul_f32_e32 v33, 0xbf52af12, v29
	;; [unrolled: 1-line block ×3, first 2 shown]
	s_delay_alu instid0(VALU_DEP_3) | instskip(NEXT) | instid1(VALU_DEP_1)
	v_dual_mul_f32 v45, 0xbf6f5d39, v27 :: v_dual_sub_f32 v30, v31, v30
	v_add_f32_e32 v30, v8, v30
	s_delay_alu instid0(VALU_DEP_3) | instskip(NEXT) | instid1(VALU_DEP_1)
	v_fmamk_f32 v43, v28, 0xbf3f9e67, v41
	v_dual_mul_f32 v40, 0xbf6f5d39, v29 :: v_dual_add_f32 v43, v8, v43
	s_delay_alu instid0(VALU_DEP_1) | instskip(SKIP_3) | instid1(VALU_DEP_4)
	v_fmamk_f32 v42, v28, 0xbeb58ec6, v40
	v_fma_f32 v40, 0xbeb58ec6, v28, -v40
	v_mul_f32_e32 v37, 0xbf7e222b, v29
	v_mul_f32_e32 v29, 0xbe750f2a, v29
	v_dual_mul_f32 v31, 0xbf3f9e67, v12 :: v_dual_add_f32 v42, v8, v42
	s_delay_alu instid0(VALU_DEP_4) | instskip(NEXT) | instid1(VALU_DEP_4)
	v_add_f32_e32 v40, v8, v40
	v_dual_mul_f32 v34, 0x3df6dbef, v18 :: v_dual_fmamk_f32 v39, v28, 0x3df6dbef, v37
	v_mul_f32_e32 v32, 0x3f116cb1, v25
	v_fma_f32 v37, 0x3df6dbef, v28, -v37
	v_fmamk_f32 v44, v28, 0xbf788fa5, v29
	s_delay_alu instid0(VALU_DEP_4) | instskip(NEXT) | instid1(VALU_DEP_4)
	v_add_f32_e32 v39, v8, v39
	v_sub_f32_e32 v26, v32, v26
	s_delay_alu instid0(VALU_DEP_4) | instskip(SKIP_4) | instid1(VALU_DEP_4)
	v_dual_add_f32 v37, v8, v37 :: v_dual_fmamk_f32 v32, v25, 0xbeb58ec6, v45
	v_fmamk_f32 v36, v28, 0x3f116cb1, v33
	v_fma_f32 v33, 0x3f116cb1, v28, -v33
	v_fma_f32 v41, 0xbf3f9e67, v28, -v41
	;; [unrolled: 1-line block ×3, first 2 shown]
	v_dual_mul_f32 v35, 0xbeb58ec6, v15 :: v_dual_add_f32 v36, v8, v36
	s_delay_alu instid0(VALU_DEP_4)
	v_dual_mul_f32 v38, 0xbf788fa5, v7 :: v_dual_add_f32 v33, v8, v33
	v_dual_add_f32 v29, v8, v44 :: v_dual_mul_f32 v44, 0xbe750f2a, v27
	v_add_f32_e32 v41, v8, v41
	v_add_f32_e32 v8, v8, v28
	v_fma_f32 v28, 0xbeb58ec6, v25, -v45
	v_add_f32_e32 v26, v30, v26
	v_add_f32_e32 v30, v36, v32
	v_fmamk_f32 v32, v25, 0xbf788fa5, v44
	v_mul_f32_e32 v36, 0x3f29c268, v27
	v_fma_f32 v44, 0xbf788fa5, v25, -v44
	v_dual_add_f32 v28, v33, v28 :: v_dual_mul_f32 v33, 0x3f7e222b, v27
	s_delay_alu instid0(VALU_DEP_4) | instskip(NEXT) | instid1(VALU_DEP_4)
	v_dual_mul_f32 v27, 0x3eedf032, v27 :: v_dual_add_f32 v32, v39, v32
	v_fmamk_f32 v39, v25, 0xbf3f9e67, v36
	s_delay_alu instid0(VALU_DEP_4) | instskip(SKIP_4) | instid1(VALU_DEP_4)
	v_add_f32_e32 v37, v37, v44
	v_fma_f32 v36, 0xbf3f9e67, v25, -v36
	v_fmamk_f32 v44, v25, 0x3df6dbef, v33
	v_fma_f32 v33, 0x3df6dbef, v25, -v33
	v_dual_add_f32 v39, v42, v39 :: v_dual_fmamk_f32 v42, v25, 0x3f62ad3f, v27
	v_add_f32_e32 v36, v40, v36
	s_delay_alu instid0(VALU_DEP_4) | instskip(SKIP_1) | instid1(VALU_DEP_4)
	v_dual_add_f32 v40, v43, v44 :: v_dual_mul_f32 v43, 0xbe750f2a, v22
	v_fma_f32 v25, 0x3f62ad3f, v25, -v27
	v_dual_add_f32 v27, v29, v42 :: v_dual_sub_f32 v24, v34, v24
	v_mul_f32_e32 v34, 0x3f6f5d39, v22
	s_delay_alu instid0(VALU_DEP_3) | instskip(SKIP_1) | instid1(VALU_DEP_4)
	v_dual_fmamk_f32 v29, v18, 0xbf788fa5, v43 :: v_dual_add_f32 v8, v8, v25
	v_fma_f32 v25, 0xbf788fa5, v18, -v43
	v_dual_add_f32 v24, v26, v24 :: v_dual_add_f32 v33, v41, v33
	s_delay_alu instid0(VALU_DEP_3) | instskip(SKIP_4) | instid1(VALU_DEP_3)
	v_add_f32_e32 v26, v30, v29
	v_fmamk_f32 v29, v18, 0xbeb58ec6, v34
	v_fma_f32 v34, 0xbeb58ec6, v18, -v34
	v_dual_add_f32 v25, v28, v25 :: v_dual_mul_f32 v30, 0x3eedf032, v22
	v_sub_f32_e32 v14, v38, v14
	v_add_f32_e32 v34, v37, v34
	v_dual_mul_f32 v28, 0xbf52af12, v22 :: v_dual_add_f32 v29, v32, v29
	s_delay_alu instid0(VALU_DEP_1) | instskip(SKIP_1) | instid1(VALU_DEP_1)
	v_fmamk_f32 v37, v18, 0x3f116cb1, v28
	v_fma_f32 v28, 0x3f116cb1, v18, -v28
	v_add_f32_e32 v28, v33, v28
	v_mul_f32_e32 v33, 0x3eedf032, v16
	v_fmamk_f32 v32, v18, 0x3f62ad3f, v30
	v_fma_f32 v30, 0x3f62ad3f, v18, -v30
	s_delay_alu instid0(VALU_DEP_2) | instskip(NEXT) | instid1(VALU_DEP_2)
	v_add_f32_e32 v32, v39, v32
	v_add_f32_e32 v30, v36, v30
	v_mul_f32_e32 v22, 0xbf29c268, v22
	v_dual_add_f32 v36, v40, v37 :: v_dual_mul_f32 v39, 0x3f29c268, v16
	s_delay_alu instid0(VALU_DEP_2) | instskip(SKIP_2) | instid1(VALU_DEP_3)
	v_fmamk_f32 v37, v18, 0xbf3f9e67, v22
	v_fma_f32 v18, 0xbf3f9e67, v18, -v22
	v_sub_f32_e32 v22, v35, v23
	v_add_f32_e32 v23, v27, v37
	s_delay_alu instid0(VALU_DEP_3) | instskip(NEXT) | instid1(VALU_DEP_3)
	v_dual_fmamk_f32 v27, v15, 0xbf3f9e67, v39 :: v_dual_add_f32 v8, v8, v18
	v_add_f32_e32 v18, v24, v22
	v_fma_f32 v22, 0xbf3f9e67, v15, -v39
	s_delay_alu instid0(VALU_DEP_3) | instskip(SKIP_4) | instid1(VALU_DEP_3)
	v_add_f32_e32 v24, v26, v27
	v_fmamk_f32 v26, v15, 0x3f62ad3f, v33
	v_mul_f32_e32 v27, 0xbf7e222b, v16
	v_fma_f32 v33, 0x3f62ad3f, v15, -v33
	v_dual_add_f32 v22, v25, v22 :: v_dual_mul_f32 v25, 0x3e750f2a, v16
	v_dual_add_f32 v26, v29, v26 :: v_dual_fmamk_f32 v29, v15, 0x3df6dbef, v27
	s_delay_alu instid0(VALU_DEP_3) | instskip(SKIP_1) | instid1(VALU_DEP_4)
	v_add_f32_e32 v33, v34, v33
	v_fma_f32 v27, 0x3df6dbef, v15, -v27
	v_fmamk_f32 v34, v15, 0xbf788fa5, v25
	s_delay_alu instid0(VALU_DEP_4) | instskip(SKIP_1) | instid1(VALU_DEP_3)
	v_dual_mul_f32 v16, 0x3f52af12, v16 :: v_dual_add_f32 v29, v32, v29
	v_fma_f32 v25, 0xbf788fa5, v15, -v25
	v_dual_add_f32 v27, v30, v27 :: v_dual_add_f32 v30, v36, v34
	s_delay_alu instid0(VALU_DEP_3)
	v_fmamk_f32 v32, v15, 0x3f116cb1, v16
	v_mul_f32_e32 v34, 0x3f7e222b, v13
	v_fma_f32 v15, 0x3f116cb1, v15, -v16
	v_sub_f32_e32 v16, v31, v17
	v_add_f32_e32 v25, v28, v25
	v_add_f32_e32 v17, v23, v32
	v_fmamk_f32 v23, v12, 0x3df6dbef, v34
	v_mul_f32_e32 v28, 0xbf52af12, v13
	v_dual_add_f32 v8, v8, v15 :: v_dual_add_f32 v15, v18, v16
	v_fma_f32 v16, 0x3df6dbef, v12, -v34
	s_delay_alu instid0(VALU_DEP_4) | instskip(NEXT) | instid1(VALU_DEP_3)
	v_add_f32_e32 v18, v24, v23
	v_dual_fmamk_f32 v23, v12, 0x3f116cb1, v28 :: v_dual_add_f32 v14, v15, v14
	s_delay_alu instid0(VALU_DEP_3) | instskip(SKIP_1) | instid1(VALU_DEP_1)
	v_add_f32_e32 v16, v22, v16
	v_mul_f32_e32 v22, 0x3eedf032, v13
	v_fmamk_f32 v31, v12, 0x3f62ad3f, v22
	v_fma_f32 v22, 0x3f62ad3f, v12, -v22
	s_delay_alu instid0(VALU_DEP_1) | instskip(SKIP_1) | instid1(VALU_DEP_1)
	v_dual_add_f32 v23, v26, v23 :: v_dual_add_f32 v22, v25, v22
	v_mul_f32_e32 v25, 0xbf29c268, v11
	v_fmamk_f32 v15, v7, 0xbf3f9e67, v25
	s_delay_alu instid0(VALU_DEP_1) | instskip(SKIP_2) | instid1(VALU_DEP_2)
	v_add_f32_e32 v15, v23, v15
	v_fma_f32 v24, 0x3f116cb1, v12, -v28
	v_mul_f32_e32 v28, 0x3e750f2a, v13
	v_dual_mul_f32 v13, 0xbf6f5d39, v13 :: v_dual_add_f32 v24, v33, v24
	s_delay_alu instid0(VALU_DEP_2) | instskip(SKIP_1) | instid1(VALU_DEP_2)
	v_fmamk_f32 v26, v12, 0xbf788fa5, v28
	v_fma_f32 v28, 0xbf788fa5, v12, -v28
	v_dual_add_f32 v26, v29, v26 :: v_dual_fmamk_f32 v29, v12, 0xbeb58ec6, v13
	v_fma_f32 v12, 0xbeb58ec6, v12, -v13
	v_mul_f32_e32 v13, 0x3eedf032, v11
	s_delay_alu instid0(VALU_DEP_4) | instskip(NEXT) | instid1(VALU_DEP_3)
	v_dual_add_f32 v27, v27, v28 :: v_dual_add_f32 v28, v30, v31
	v_dual_add_f32 v17, v17, v29 :: v_dual_add_f32 v8, v8, v12
	s_delay_alu instid0(VALU_DEP_3) | instskip(SKIP_1) | instid1(VALU_DEP_2)
	v_fmamk_f32 v12, v7, 0x3f62ad3f, v13
	v_fma_f32 v13, 0x3f62ad3f, v7, -v13
	v_dual_mul_f32 v29, 0x3f52af12, v11 :: v_dual_add_f32 v12, v18, v12
	v_fma_f32 v18, 0xbf3f9e67, v7, -v25
	s_delay_alu instid0(VALU_DEP_2) | instskip(SKIP_2) | instid1(VALU_DEP_4)
	v_dual_add_f32 v13, v16, v13 :: v_dual_fmamk_f32 v16, v7, 0x3f116cb1, v29
	v_fma_f32 v23, 0x3f116cb1, v7, -v29
	v_mul_u32_u24_e32 v25, 52, v21
	v_add_f32_e32 v18, v24, v18
	v_mul_f32_e32 v24, 0xbf6f5d39, v11
	v_dual_mul_f32 v11, 0x3f7e222b, v11 :: v_dual_add_f32 v16, v26, v16
	v_add_f32_e32 v23, v27, v23
	s_delay_alu instid0(VALU_DEP_3) | instskip(NEXT) | instid1(VALU_DEP_3)
	v_fmamk_f32 v26, v7, 0xbeb58ec6, v24
	v_fmamk_f32 v27, v7, 0x3df6dbef, v11
	v_fma_f32 v11, 0x3df6dbef, v7, -v11
	v_fma_f32 v7, 0xbeb58ec6, v7, -v24
	v_add3_u32 v24, 0, v25, v72
	v_add_f32_e32 v25, v28, v26
	v_add_f32_e32 v17, v17, v27
	;; [unrolled: 1-line block ×4, first 2 shown]
	ds_store_2addr_b32 v24, v10, v20 offset1:1
	ds_store_2addr_b32 v24, v12, v15 offset0:2 offset1:3
	ds_store_2addr_b32 v24, v16, v25 offset0:4 offset1:5
	;; [unrolled: 1-line block ×5, first 2 shown]
	ds_store_b32 v24, v14 offset:48
.LBB0_20:
	s_wait_alu 0xfffe
	s_or_b32 exec_lo, exec_lo, s4
	v_add_nc_u32_e32 v15, 0x400, v0
	v_add_nc_u32_e32 v24, 0x200, v0
	global_wb scope:SCOPE_SE
	s_wait_dscnt 0x0
	s_barrier_signal -1
	s_barrier_wait -1
	global_inv scope:SCOPE_SE
	ds_load_2addr_b32 v[11:12], v0 offset0:117 offset1:182
	ds_load_2addr_b32 v[7:8], v15 offset0:43 offset1:108
	;; [unrolled: 1-line block ×5, first 2 shown]
	ds_load_b32 v23, v71
	ds_load_b32 v22, v0 offset:1924
	s_and_saveexec_b32 s1, s0
	s_cbranch_execz .LBB0_22
; %bb.21:
	ds_load_2addr_b32 v[9:10], v24 offset0:28 offset1:210
	ds_load_b32 v20, v0 offset:2080
.LBB0_22:
	s_wait_alu 0xfffe
	s_or_b32 exec_lo, exec_lo, s1
	v_and_b32_e32 v25, 0xff, v21
	v_add_nc_u16 v26, v3, 0x4e
	v_and_b32_e32 v24, 0xff, v3
	v_add_nc_u16 v27, v3, 0x75
	v_add_nc_u16 v30, v3, 0x9c
	v_mul_lo_u16 v25, 0x4f, v25
	v_and_b32_e32 v29, 0xff, v26
	v_mul_lo_u16 v24, 0x4f, v24
	v_and_b32_e32 v31, 0xff, v27
	s_delay_alu instid0(VALU_DEP_4) | instskip(NEXT) | instid1(VALU_DEP_4)
	v_lshrrev_b16 v25, 10, v25
	v_mul_lo_u16 v29, 0x4f, v29
	s_delay_alu instid0(VALU_DEP_4) | instskip(NEXT) | instid1(VALU_DEP_4)
	v_lshrrev_b16 v24, 10, v24
	v_mul_lo_u16 v31, 0x4f, v31
	s_delay_alu instid0(VALU_DEP_4) | instskip(NEXT) | instid1(VALU_DEP_4)
	v_mul_lo_u16 v32, v25, 13
	v_lshrrev_b16 v29, 10, v29
	s_delay_alu instid0(VALU_DEP_4) | instskip(NEXT) | instid1(VALU_DEP_4)
	v_mul_lo_u16 v28, v24, 13
	v_lshrrev_b16 v39, 10, v31
	s_delay_alu instid0(VALU_DEP_4) | instskip(NEXT) | instid1(VALU_DEP_4)
	v_sub_nc_u16 v21, v21, v32
	v_mul_lo_u16 v35, v29, 13
	s_delay_alu instid0(VALU_DEP_4) | instskip(NEXT) | instid1(VALU_DEP_4)
	v_sub_nc_u16 v28, v3, v28
	v_mul_lo_u16 v41, v39, 13
	s_delay_alu instid0(VALU_DEP_4) | instskip(NEXT) | instid1(VALU_DEP_4)
	v_and_b32_e32 v21, 0xff, v21
	v_sub_nc_u16 v26, v26, v35
	s_delay_alu instid0(VALU_DEP_4) | instskip(NEXT) | instid1(VALU_DEP_4)
	v_and_b32_e32 v28, 0xff, v28
	v_sub_nc_u16 v27, v27, v41
	s_delay_alu instid0(VALU_DEP_4) | instskip(NEXT) | instid1(VALU_DEP_2)
	v_lshlrev_b32_e32 v36, 4, v21
	v_and_b32_e32 v41, 0xff, v27
	global_load_b128 v[35:38], v36, s[8:9]
	v_and_b32_e32 v33, 0xff, v30
	v_and_b32_e32 v26, 0xff, v26
	v_lshlrev_b32_e32 v31, 4, v28
	s_delay_alu instid0(VALU_DEP_3) | instskip(NEXT) | instid1(VALU_DEP_3)
	v_mul_lo_u16 v32, 0x4f, v33
	v_lshlrev_b32_e32 v27, 4, v26
	s_delay_alu instid0(VALU_DEP_2)
	v_lshrrev_b16 v40, 10, v32
	s_clause 0x1
	global_load_b128 v[31:34], v31, s[8:9]
	global_load_b128 v[45:48], v27, s[8:9]
	v_and_b32_e32 v24, 0xffff, v24
	v_mul_lo_u16 v42, v40, 13
	s_delay_alu instid0(VALU_DEP_2) | instskip(NEXT) | instid1(VALU_DEP_2)
	v_mad_u32_u24 v24, 0x9c, v24, 0
	v_sub_nc_u16 v30, v30, v42
	v_lshlrev_b32_e32 v42, 4, v41
	s_delay_alu instid0(VALU_DEP_2) | instskip(NEXT) | instid1(VALU_DEP_1)
	v_and_b32_e32 v30, 0xff, v30
	v_lshlrev_b32_e32 v27, 4, v30
	s_clause 0x1
	global_load_b128 v[49:52], v42, s[8:9]
	global_load_b128 v[53:56], v27, s[8:9]
	v_and_b32_e32 v25, 0xffff, v25
	v_and_b32_e32 v29, 0xffff, v29
	v_lshlrev_b32_e32 v21, 2, v21
	v_and_b32_e32 v39, 0xffff, v39
	global_wb scope:SCOPE_SE
	s_wait_loadcnt_dscnt 0x0
	v_mad_u32_u24 v27, 0x9c, v25, 0
	v_mad_u32_u24 v29, 0x9c, v29, 0
	v_and_b32_e32 v25, 0xffff, v40
	s_barrier_signal -1
	s_barrier_wait -1
	v_add3_u32 v27, v27, v21, v72
	v_lshlrev_b32_e32 v21, 2, v26
	v_lshlrev_b32_e32 v26, 2, v30
	global_inv scope:SCOPE_SE
	v_add3_u32 v30, v29, v21, v72
	v_dual_mul_f32 v21, v66, v34 :: v_dual_lshlrev_b32 v28, 2, v28
	v_mul_f32_e32 v40, v12, v32
	s_delay_alu instid0(VALU_DEP_2) | instskip(NEXT) | instid1(VALU_DEP_3)
	v_fmac_f32_e32 v21, v8, v33
	v_add3_u32 v28, v24, v28, v72
	v_dual_mul_f32 v41, v62, v32 :: v_dual_lshlrev_b32 v24, 2, v41
	v_mul_f32_e32 v32, v8, v34
	v_mul_f32_e32 v34, v17, v36
	v_fma_f32 v43, v62, v31, -v40
	s_delay_alu instid0(VALU_DEP_4) | instskip(NEXT) | instid1(VALU_DEP_4)
	v_dual_mul_f32 v8, v70, v46 :: v_dual_fmac_f32 v41, v12, v31
	v_fma_f32 v44, v66, v33, -v32
	s_delay_alu instid0(VALU_DEP_4) | instskip(NEXT) | instid1(VALU_DEP_3)
	v_fma_f32 v40, v69, v35, -v34
	v_dual_fmac_f32 v8, v18, v45 :: v_dual_mul_f32 v33, v7, v50
	v_mul_f32_e32 v32, v60, v54
	v_mad_u32_u24 v39, 0x9c, v39, 0
	v_mul_f32_e32 v12, v65, v50
	v_mul_f32_e32 v34, v22, v52
	s_delay_alu instid0(VALU_DEP_4) | instskip(NEXT) | instid1(VALU_DEP_4)
	v_fmac_f32_e32 v32, v10, v53
	v_add3_u32 v29, v39, v24, v72
	v_dual_mul_f32 v39, v69, v36 :: v_dual_mul_f32 v36, v15, v38
	v_mul_f32_e32 v24, v67, v38
	v_fmac_f32_e32 v12, v7, v49
	v_fma_f32 v38, v73, v51, -v34
	s_delay_alu instid0(VALU_DEP_4)
	v_fmac_f32_e32 v39, v17, v35
	v_mul_f32_e32 v17, v16, v48
	v_fma_f32 v42, v67, v37, -v36
	v_dual_fmac_f32 v24, v15, v37 :: v_dual_mul_f32 v15, v18, v46
	v_mul_f32_e32 v35, v68, v48
	v_mul_f32_e32 v48, v20, v56
	;; [unrolled: 1-line block ×4, first 2 shown]
	v_fma_f32 v15, v70, v45, -v15
	v_fma_f32 v17, v68, v47, -v17
	v_fmac_f32_e32 v35, v16, v47
	v_fma_f32 v37, v65, v49, -v33
	v_fma_f32 v34, v4, v55, -v48
	v_dual_add_f32 v7, v43, v44 :: v_dual_add_f32 v18, v40, v42
	v_add_f32_e32 v16, v63, v40
	v_add_f32_e32 v4, v19, v43
	v_mul_f32_e32 v46, v10, v54
	v_fmac_f32_e32 v36, v22, v51
	v_dual_fmac_f32 v31, v20, v55 :: v_dual_sub_f32 v10, v41, v21
	v_fmac_f32_e32 v19, -0.5, v7
	v_add_f32_e32 v7, v16, v42
	v_dual_add_f32 v4, v4, v44 :: v_dual_add_f32 v47, v37, v38
	v_add_f32_e32 v22, v15, v17
	v_dual_sub_f32 v20, v39, v24 :: v_dual_sub_f32 v45, v8, v35
	v_fma_f32 v16, -0.5, v18, v63
	v_fma_f32 v33, v60, v53, -v46
	v_dual_add_f32 v18, v64, v15 :: v_dual_fmamk_f32 v49, v10, 0x3f5db3d7, v19
	v_dual_add_f32 v46, v61, v37 :: v_dual_fmac_f32 v61, -0.5, v47
	v_dual_sub_f32 v48, v12, v36 :: v_dual_fmac_f32 v19, 0xbf5db3d7, v10
	v_fmac_f32_e32 v64, -0.5, v22
	v_fmamk_f32 v10, v20, 0x3f5db3d7, v16
	v_fmac_f32_e32 v16, 0xbf5db3d7, v20
	v_add_f32_e32 v18, v18, v17
	v_add_f32_e32 v20, v46, v38
	v_fmamk_f32 v22, v45, 0x3f5db3d7, v64
	v_fmac_f32_e32 v64, 0xbf5db3d7, v45
	v_fmamk_f32 v45, v48, 0x3f5db3d7, v61
	v_fmac_f32_e32 v61, 0xbf5db3d7, v48
	ds_store_2addr_b32 v28, v4, v49 offset1:13
	ds_store_b32 v28, v19 offset:104
	ds_store_2addr_b32 v27, v7, v10 offset1:13
	ds_store_b32 v27, v16 offset:104
	;; [unrolled: 2-line block ×4, first 2 shown]
	s_and_saveexec_b32 s1, s0
	s_cbranch_execz .LBB0_24
; %bb.23:
	v_dual_add_f32 v4, v33, v34 :: v_dual_sub_f32 v7, v32, v31
	v_add_f32_e32 v10, v59, v33
	v_mad_u32_u24 v16, 0x9c, v25, 0
	s_delay_alu instid0(VALU_DEP_3) | instskip(NEXT) | instid1(VALU_DEP_3)
	v_fma_f32 v4, -0.5, v4, v59
	v_add_f32_e32 v10, v10, v34
	s_delay_alu instid0(VALU_DEP_3) | instskip(NEXT) | instid1(VALU_DEP_3)
	v_add3_u32 v16, v16, v26, v72
	v_fmamk_f32 v18, v7, 0xbf5db3d7, v4
	v_fmac_f32_e32 v4, 0x3f5db3d7, v7
	ds_store_2addr_b32 v16, v10, v4 offset1:13
	ds_store_b32 v16, v18 offset:104
.LBB0_24:
	s_wait_alu 0xfffe
	s_or_b32 exec_lo, exec_lo, s1
	v_add_f32_e32 v16, v39, v24
	v_dual_add_f32 v7, v23, v41 :: v_dual_sub_f32 v18, v40, v42
	global_wb scope:SCOPE_SE
	s_wait_dscnt 0x0
	s_barrier_signal -1
	v_fma_f32 v40, -0.5, v16, v13
	v_sub_f32_e32 v10, v43, v44
	s_barrier_wait -1
	global_inv scope:SCOPE_SE
	v_sub_f32_e32 v45, v15, v17
	v_dual_fmamk_f32 v43, v18, 0xbf5db3d7, v40 :: v_dual_add_f32 v4, v41, v21
	v_sub_f32_e32 v37, v37, v38
	s_delay_alu instid0(VALU_DEP_2) | instskip(SKIP_3) | instid1(VALU_DEP_4)
	v_dual_fmac_f32 v23, -0.5, v4 :: v_dual_add_f32 v4, v13, v39
	v_dual_add_f32 v39, v7, v21 :: v_dual_fmac_f32 v40, 0x3f5db3d7, v18
	v_add_f32_e32 v7, v12, v36
	v_add_f32_e32 v44, v14, v8
	;; [unrolled: 1-line block ×3, first 2 shown]
	v_dual_add_f32 v4, v8, v35 :: v_dual_fmamk_f32 v41, v10, 0xbf5db3d7, v23
	v_dual_fmac_f32 v23, 0x3f5db3d7, v10 :: v_dual_add_f32 v46, v11, v12
	v_fmac_f32_e32 v11, -0.5, v7
	s_delay_alu instid0(VALU_DEP_3)
	v_dual_add_f32 v35, v44, v35 :: v_dual_fmac_f32 v14, -0.5, v4
	v_add_nc_u32_e32 v4, 0x400, v0
	ds_load_2addr_b32 v[7:8], v0 offset0:39 offset1:78
	ds_load_2addr_b32 v[21:22], v0 offset0:117 offset1:156
	;; [unrolled: 1-line block ×6, first 2 shown]
	ds_load_b32 v10, v71
	ds_load_b32 v24, v0 offset:2028
	v_add_f32_e32 v36, v46, v36
	v_fmamk_f32 v38, v45, 0xbf5db3d7, v14
	v_fmac_f32_e32 v14, 0x3f5db3d7, v45
	v_fmamk_f32 v44, v37, 0xbf5db3d7, v11
	v_fmac_f32_e32 v11, 0x3f5db3d7, v37
	global_wb scope:SCOPE_SE
	s_wait_dscnt 0x0
	s_barrier_signal -1
	s_barrier_wait -1
	global_inv scope:SCOPE_SE
	ds_store_2addr_b32 v28, v39, v41 offset1:13
	ds_store_b32 v28, v23 offset:104
	ds_store_2addr_b32 v27, v42, v43 offset1:13
	ds_store_b32 v27, v40 offset:104
	;; [unrolled: 2-line block ×4, first 2 shown]
	s_and_saveexec_b32 s1, s0
	s_cbranch_execz .LBB0_26
; %bb.25:
	v_dual_add_f32 v11, v32, v31 :: v_dual_add_f32 v14, v9, v32
	v_sub_f32_e32 v23, v33, v34
	v_mad_u32_u24 v25, 0x9c, v25, 0
	s_delay_alu instid0(VALU_DEP_3) | instskip(NEXT) | instid1(VALU_DEP_4)
	v_fmac_f32_e32 v9, -0.5, v11
	v_add_f32_e32 v11, v14, v31
	s_delay_alu instid0(VALU_DEP_3) | instskip(NEXT) | instid1(VALU_DEP_3)
	v_add3_u32 v14, v25, v26, v72
	v_fmamk_f32 v25, v23, 0xbf5db3d7, v9
	v_fmamk_f32 v9, v23, 0x3f5db3d7, v9
	ds_store_2addr_b32 v14, v11, v25 offset1:13
	ds_store_b32 v14, v9 offset:104
.LBB0_26:
	s_wait_alu 0xfffe
	s_or_b32 exec_lo, exec_lo, s1
	v_mul_u32_u24_e32 v9, 6, v3
	global_wb scope:SCOPE_SE
	s_wait_dscnt 0x0
	s_barrier_signal -1
	s_barrier_wait -1
	global_inv scope:SCOPE_SE
	v_lshlrev_b32_e32 v9, 3, v9
	s_clause 0x2
	global_load_b128 v[25:28], v9, s[8:9] offset:208
	global_load_b128 v[29:32], v9, s[8:9] offset:224
	;; [unrolled: 1-line block ×3, first 2 shown]
	ds_load_2addr_b32 v[37:38], v0 offset0:39 offset1:78
	ds_load_2addr_b32 v[39:40], v0 offset0:117 offset1:156
	;; [unrolled: 1-line block ×6, first 2 shown]
	ds_load_b32 v9, v71
	ds_load_b32 v11, v0 offset:2028
	v_add_nc_u32_e32 v23, 0x200, v0
	global_wb scope:SCOPE_SE
	s_wait_loadcnt_dscnt 0x0
	s_barrier_signal -1
	s_barrier_wait -1
	global_inv scope:SCOPE_SE
	v_mul_f32_e32 v14, v38, v26
	v_mul_f32_e32 v52, v42, v30
	;; [unrolled: 1-line block ×4, first 2 shown]
	v_dual_mul_f32 v51, v22, v28 :: v_dual_mul_f32 v60, v39, v26
	v_dual_mul_f32 v55, v18, v32 :: v_dual_mul_f32 v26, v21, v26
	;; [unrolled: 1-line block ×3, first 2 shown]
	v_mul_f32_e32 v53, v20, v30
	v_mul_f32_e32 v54, v44, v32
	s_delay_alu instid0(VALU_DEP_4)
	v_dual_mul_f32 v57, v16, v34 :: v_dual_fmac_f32 v26, v39, v25
	v_mul_f32_e32 v58, v48, v36
	v_dual_mul_f32 v61, v41, v28 :: v_dual_mul_f32 v62, v43, v30
	v_mul_f32_e32 v28, v19, v28
	v_dual_mul_f32 v30, v17, v30 :: v_dual_mul_f32 v65, v11, v36
	v_dual_mul_f32 v63, v45, v32 :: v_dual_mul_f32 v64, v47, v34
	v_mul_f32_e32 v32, v15, v32
	v_fma_f32 v8, v8, v25, -v14
	v_fmac_f32_e32 v49, v38, v25
	v_fma_f32 v14, v22, v27, -v50
	v_fma_f32 v16, v16, v33, -v56
	v_dual_fmac_f32 v51, v40, v27 :: v_dual_fmac_f32 v30, v43, v29
	v_dual_fmac_f32 v57, v46, v33 :: v_dual_mul_f32 v36, v24, v36
	v_fma_f32 v13, v13, v35, -v58
	v_fmac_f32_e32 v59, v48, v35
	v_fma_f32 v21, v21, v25, -v60
	v_dual_fmac_f32 v32, v45, v31 :: v_dual_add_f32 v25, v14, v16
	v_sub_f32_e32 v14, v14, v16
	v_mul_f32_e32 v34, v12, v34
	v_fma_f32 v20, v20, v29, -v52
	v_fmac_f32_e32 v53, v42, v29
	v_fma_f32 v18, v18, v31, -v54
	v_fma_f32 v19, v19, v27, -v61
	v_fmac_f32_e32 v28, v41, v27
	v_fma_f32 v12, v12, v33, -v64
	v_fma_f32 v22, v24, v35, -v65
	v_add_f32_e32 v27, v51, v57
	v_dual_fmac_f32 v36, v11, v35 :: v_dual_add_f32 v11, v8, v13
	v_dual_sub_f32 v8, v8, v13 :: v_dual_sub_f32 v13, v49, v59
	v_dual_fmac_f32 v55, v44, v31 :: v_dual_fmac_f32 v34, v47, v33
	v_fma_f32 v17, v17, v29, -v62
	v_fma_f32 v15, v15, v31, -v63
	v_dual_sub_f32 v16, v51, v57 :: v_dual_add_f32 v33, v21, v22
	v_dual_add_f32 v29, v20, v18 :: v_dual_add_f32 v24, v49, v59
	v_add_f32_e32 v35, v26, v36
	v_dual_add_f32 v31, v53, v55 :: v_dual_sub_f32 v18, v18, v20
	v_dual_sub_f32 v21, v21, v22 :: v_dual_sub_f32 v20, v55, v53
	v_sub_f32_e32 v22, v26, v36
	v_add_f32_e32 v26, v19, v12
	v_dual_add_f32 v36, v28, v34 :: v_dual_sub_f32 v39, v27, v24
	v_dual_sub_f32 v12, v19, v12 :: v_dual_sub_f32 v19, v28, v34
	v_add_f32_e32 v34, v30, v32
	v_dual_add_f32 v28, v17, v15 :: v_dual_sub_f32 v15, v15, v17
	v_dual_sub_f32 v17, v32, v30 :: v_dual_add_f32 v30, v25, v11
	v_add_f32_e32 v41, v20, v16
	v_dual_add_f32 v32, v27, v24 :: v_dual_add_f32 v45, v36, v35
	v_dual_sub_f32 v38, v25, v11 :: v_dual_sub_f32 v43, v20, v16
	v_dual_sub_f32 v11, v11, v29 :: v_dual_sub_f32 v24, v24, v31
	v_sub_f32_e32 v25, v29, v25
	v_dual_sub_f32 v27, v31, v27 :: v_dual_add_f32 v40, v18, v14
	v_dual_sub_f32 v47, v36, v35 :: v_dual_sub_f32 v20, v13, v20
	v_dual_sub_f32 v35, v35, v34 :: v_dual_sub_f32 v16, v16, v13
	v_dual_sub_f32 v42, v18, v14 :: v_dual_add_f32 v49, v17, v19
	v_dual_sub_f32 v18, v8, v18 :: v_dual_sub_f32 v51, v17, v19
	v_sub_f32_e32 v14, v14, v8
	v_dual_add_f32 v44, v26, v33 :: v_dual_add_f32 v29, v29, v30
	v_dual_sub_f32 v46, v26, v33 :: v_dual_mul_f32 v11, 0x3f4a47b2, v11
	v_dual_sub_f32 v33, v33, v28 :: v_dual_sub_f32 v26, v28, v26
	v_sub_f32_e32 v17, v22, v17
	v_dual_sub_f32 v36, v34, v36 :: v_dual_add_f32 v13, v41, v13
	v_add_f32_e32 v48, v15, v12
	v_dual_sub_f32 v50, v15, v12 :: v_dual_mul_f32 v41, 0xbf08b237, v43
	v_dual_sub_f32 v19, v19, v22 :: v_dual_sub_f32 v12, v12, v21
	v_mul_f32_e32 v43, 0x3f5ff5aa, v16
	v_add_f32_e32 v30, v31, v32
	v_dual_mul_f32 v24, 0x3f4a47b2, v24 :: v_dual_mul_f32 v35, 0x3f4a47b2, v35
	v_mul_f32_e32 v31, 0x3d64c772, v25
	v_dual_add_f32 v34, v34, v45 :: v_dual_sub_f32 v15, v21, v15
	v_dual_add_f32 v8, v40, v8 :: v_dual_mul_f32 v33, 0x3f4a47b2, v33
	v_dual_mul_f32 v32, 0x3d64c772, v27 :: v_dual_mul_f32 v45, 0x3d64c772, v36
	v_mul_f32_e32 v40, 0xbf08b237, v42
	v_mul_f32_e32 v42, 0x3f5ff5aa, v14
	v_add_f32_e32 v28, v28, v44
	v_dual_add_f32 v21, v48, v21 :: v_dual_add_f32 v52, v9, v30
	v_fmamk_f32 v9, v25, 0x3d64c772, v11
	s_delay_alu instid0(VALU_DEP_3)
	v_dual_add_f32 v22, v49, v22 :: v_dual_add_f32 v7, v7, v28
	v_mul_f32_e32 v44, 0x3d64c772, v26
	v_mul_f32_e32 v49, 0xbf08b237, v51
	v_fmamk_f32 v25, v27, 0x3d64c772, v24
	v_mul_f32_e32 v48, 0xbf08b237, v50
	v_dual_mul_f32 v50, 0x3f5ff5aa, v12 :: v_dual_add_f32 v37, v37, v34
	v_fma_f32 v27, 0x3f3bfb3b, v38, -v31
	v_fma_f32 v11, 0xbf3bfb3b, v38, -v11
	v_fmamk_f32 v38, v20, 0x3eae86e6, v41
	v_fma_f32 v16, 0x3f5ff5aa, v16, -v41
	v_fma_f32 v20, 0xbeae86e6, v20, -v43
	v_dual_mul_f32 v51, 0x3f5ff5aa, v19 :: v_dual_add_f32 v10, v10, v29
	v_fmamk_f32 v41, v15, 0x3eae86e6, v48
	v_fma_f32 v31, 0x3f3bfb3b, v39, -v32
	v_fma_f32 v24, 0xbf3bfb3b, v39, -v24
	;; [unrolled: 1-line block ×7, first 2 shown]
	v_fmac_f32_e32 v38, 0x3ee1c552, v13
	v_fmac_f32_e32 v16, 0x3ee1c552, v13
	;; [unrolled: 1-line block ×3, first 2 shown]
	v_fmamk_f32 v13, v34, 0xbf955555, v37
	v_fmamk_f32 v19, v30, 0xbf955555, v52
	;; [unrolled: 1-line block ×3, first 2 shown]
	v_fma_f32 v18, 0xbeae86e6, v18, -v42
	v_fma_f32 v40, 0x3f3bfb3b, v47, -v45
	v_fmamk_f32 v42, v17, 0x3eae86e6, v49
	v_fma_f32 v15, 0xbeae86e6, v17, -v51
	v_fmamk_f32 v17, v29, 0xbf955555, v10
	v_dual_fmac_f32 v14, 0x3ee1c552, v8 :: v_dual_fmac_f32 v41, 0x3ee1c552, v21
	v_dual_fmac_f32 v18, 0x3ee1c552, v8 :: v_dual_fmac_f32 v43, 0x3ee1c552, v21
	v_dual_fmac_f32 v44, 0x3ee1c552, v21 :: v_dual_add_f32 v21, v25, v19
	v_dual_add_f32 v25, v31, v19 :: v_dual_fmac_f32 v32, 0x3ee1c552, v8
	v_fmac_f32_e32 v15, 0x3ee1c552, v22
	v_dual_fmamk_f32 v8, v28, 0xbf955555, v7 :: v_dual_add_f32 v9, v9, v17
	v_dual_add_f32 v11, v11, v17 :: v_dual_fmac_f32 v12, 0x3ee1c552, v22
	s_delay_alu instid0(VALU_DEP_4)
	v_dual_sub_f32 v29, v21, v32 :: v_dual_fmac_f32 v42, 0x3ee1c552, v22
	v_add_f32_e32 v22, v27, v17
	v_dual_fmamk_f32 v26, v26, 0x3d64c772, v33 :: v_dual_add_f32 v17, v24, v19
	v_fma_f32 v33, 0xbf3bfb3b, v46, -v33
	v_fmamk_f32 v36, v36, 0x3d64c772, v35
	v_fma_f32 v35, 0xbf3bfb3b, v47, -v35
	s_delay_alu instid0(VALU_DEP_4)
	v_add_f32_e32 v19, v26, v8
	v_add_f32_e32 v26, v39, v8
	v_dual_add_f32 v8, v33, v8 :: v_dual_add_f32 v21, v32, v21
	v_add_f32_e32 v24, v36, v13
	v_add_f32_e32 v27, v40, v13
	;; [unrolled: 1-line block ×4, first 2 shown]
	v_sub_f32_e32 v31, v17, v18
	v_dual_sub_f32 v33, v22, v16 :: v_dual_add_f32 v30, v20, v11
	v_dual_add_f32 v16, v16, v22 :: v_dual_sub_f32 v11, v11, v20
	v_dual_sub_f32 v9, v9, v38 :: v_dual_add_f32 v34, v14, v25
	v_dual_sub_f32 v35, v28, v44 :: v_dual_sub_f32 v22, v25, v14
	v_add_f32_e32 v25, v18, v17
	v_dual_add_f32 v14, v42, v19 :: v_dual_add_f32 v17, v15, v8
	v_sub_f32_e32 v18, v26, v12
	v_add_f32_e32 v12, v12, v26
	v_dual_sub_f32 v8, v8, v15 :: v_dual_sub_f32 v15, v19, v42
	v_add_f32_e32 v26, v43, v27
	v_sub_f32_e32 v27, v27, v43
	ds_store_2addr_b32 v0, v10, v13 offset1:39
	ds_store_2addr_b32 v0, v30, v33 offset0:78 offset1:117
	ds_store_2addr_b32 v0, v16, v11 offset0:156 offset1:195
	;; [unrolled: 1-line block ×6, first 2 shown]
	global_wb scope:SCOPE_SE
	s_wait_dscnt 0x0
	s_barrier_signal -1
	s_barrier_wait -1
	global_inv scope:SCOPE_SE
	ds_load_2addr_b32 v[13:14], v4 offset0:17 offset1:56
	ds_load_2addr_b32 v[7:8], v0 offset0:39 offset1:78
	ds_load_2addr_b32 v[15:16], v4 offset0:95 offset1:134
	ds_load_2addr_b32 v[9:10], v0 offset0:117 offset1:156
	ds_load_2addr_b32 v[17:18], v4 offset0:173 offset1:212
	ds_load_2addr_b32 v[11:12], v0 offset0:195 offset1:234
	ds_load_b32 v19, v71
	ds_load_b32 v20, v0 offset:2028
	v_sub_f32_e32 v32, v24, v41
	v_add_f32_e32 v28, v44, v28
	v_add_f32_e32 v24, v41, v24
	global_wb scope:SCOPE_SE
	s_wait_dscnt 0x0
	s_barrier_signal -1
	s_barrier_wait -1
	global_inv scope:SCOPE_SE
	ds_store_2addr_b32 v0, v52, v29 offset1:39
	ds_store_2addr_b32 v0, v31, v34 offset0:78 offset1:117
	ds_store_2addr_b32 v0, v22, v25 offset0:156 offset1:195
	;; [unrolled: 1-line block ×6, first 2 shown]
	global_wb scope:SCOPE_SE
	s_wait_dscnt 0x0
	s_barrier_signal -1
	s_barrier_wait -1
	global_inv scope:SCOPE_SE
	s_and_saveexec_b32 s0, vcc_lo
	s_cbranch_execz .LBB0_28
; %bb.27:
	v_dual_mov_b32 v4, 0 :: v_dual_add_nc_u32 v45, 0x400, v0
	v_mul_hi_u32 v48, 0xe01e01e1, v3
	v_mul_lo_u32 v47, s3, v5
	v_mul_lo_u32 v6, s2, v6
	s_delay_alu instid0(VALU_DEP_4)
	v_lshlrev_b64_e32 v[21:22], 3, v[3:4]
	v_mad_co_u64_u32 v[4:5], null, s2, v5, 0
	v_add_nc_u32_e32 v49, 0x4e, v3
	v_add_nc_u32_e32 v50, 0x75, v3
	;; [unrolled: 1-line block ×3, first 2 shown]
	v_add_co_u32 v21, vcc_lo, s8, v21
	s_wait_alu 0xfffd
	v_add_co_ci_u32_e32 v22, vcc_lo, s9, v22, vcc_lo
	v_add_nc_u32_e32 v52, 0xc3, v3
	v_add_nc_u32_e32 v53, 0xea, v3
	v_sub_nc_u32_e32 v57, v3, v48
	s_clause 0x6
	global_load_b64 v[23:24], v[21:22], off offset:3952
	global_load_b64 v[25:26], v[21:22], off offset:3640
	;; [unrolled: 1-line block ×7, first 2 shown]
	ds_load_2addr_b32 v[35:36], v0 offset0:195 offset1:234
	ds_load_2addr_b32 v[37:38], v0 offset0:117 offset1:156
	;; [unrolled: 1-line block ×3, first 2 shown]
	ds_load_b32 v82, v0 offset:2028
	ds_load_b32 v83, v71
	v_lshlrev_b64_e32 v[0:1], 3, v[1:2]
	v_add_nc_u32_e32 v2, 39, v3
	v_mul_hi_u32 v55, 0xe01e01e1, v49
	v_mul_hi_u32 v56, 0xe01e01e1, v50
	v_add3_u32 v5, v5, v6, v47
	v_mul_hi_u32 v6, 0xe01e01e1, v51
	v_mul_hi_u32 v54, 0xe01e01e1, v2
	v_mul_hi_u32 v47, 0xe01e01e1, v52
	v_mul_hi_u32 v58, 0xe01e01e1, v53
	v_lshrrev_b32_e32 v57, 1, v57
	v_lshlrev_b64_e32 v[4:5], 3, v[4:5]
	v_sub_nc_u32_e32 v60, v49, v55
	v_sub_nc_u32_e32 v61, v50, v56
	;; [unrolled: 1-line block ×6, first 2 shown]
	v_add_nc_u32_e32 v48, v57, v48
	v_add_co_u32 v4, vcc_lo, s6, v4
	v_lshrrev_b32_e32 v57, 1, v59
	v_lshrrev_b32_e32 v59, 1, v60
	;; [unrolled: 1-line block ×7, first 2 shown]
	s_wait_alu 0xfffd
	v_add_co_ci_u32_e32 v5, vcc_lo, s7, v5, vcc_lo
	v_add_nc_u32_e32 v54, v57, v54
	v_add_nc_u32_e32 v57, v63, v58
	v_add_co_u32 v84, vcc_lo, v4, v0
	v_mul_u32_u24_e32 v0, 0x111, v48
	s_delay_alu instid0(VALU_DEP_4) | instskip(NEXT) | instid1(VALU_DEP_4)
	v_lshrrev_b32_e32 v4, 8, v54
	v_lshrrev_b32_e32 v54, 8, v57
	v_add_nc_u32_e32 v6, v61, v6
	v_add_nc_u32_e32 v55, v59, v55
	v_sub_nc_u32_e32 v57, v3, v0
	v_mul_u32_u24_e32 v3, 0x111, v4
	s_wait_alu 0xfffd
	v_add_co_ci_u32_e32 v85, vcc_lo, v5, v1, vcc_lo
	v_lshrrev_b32_e32 v6, 8, v6
	v_add_nc_u32_e32 v70, 0x111, v57
	v_mad_co_u64_u32 v[0:1], null, s16, v57, 0
	v_sub_nc_u32_e32 v61, v2, v3
	v_lshrrev_b32_e32 v5, 8, v55
	s_delay_alu instid0(VALU_DEP_4) | instskip(SKIP_1) | instid1(VALU_DEP_4)
	v_mad_co_u64_u32 v[2:3], null, s16, v70, 0
	v_mul_u32_u24_e32 v58, 0x111, v6
	v_mad_u32_u24 v72, 0x222, v4, v61
	s_delay_alu instid0(VALU_DEP_4)
	v_mul_u32_u24_e32 v55, 0x111, v5
	v_add_nc_u32_e32 v47, v62, v47
	ds_load_2addr_b32 v[41:42], v45 offset0:173 offset1:212
	ds_load_2addr_b32 v[43:44], v45 offset0:95 offset1:134
	;; [unrolled: 1-line block ×3, first 2 shown]
	v_sub_nc_u32_e32 v51, v51, v58
	v_mad_co_u64_u32 v[57:58], null, s17, v57, v[1:2]
	v_dual_mov_b32 v1, v3 :: v_dual_add_nc_u32 v56, v60, v56
	v_sub_nc_u32_e32 v49, v49, v55
	v_lshrrev_b32_e32 v47, 8, v47
	v_mul_u32_u24_e32 v60, 0x111, v54
	v_mad_u32_u24 v75, 0x222, v6, v51
	v_mad_co_u64_u32 v[70:71], null, s17, v70, v[1:2]
	v_mov_b32_e32 v1, v57
	v_lshrrev_b32_e32 v48, 8, v56
	v_mad_u32_u24 v73, 0x222, v5, v49
	v_mad_co_u64_u32 v[4:5], null, s16, v72, 0
	v_mul_u32_u24_e32 v59, 0x111, v47
	s_delay_alu instid0(VALU_DEP_4)
	v_mul_u32_u24_e32 v56, 0x111, v48
	v_sub_nc_u32_e32 v53, v53, v60
	v_add_nc_u32_e32 v78, 0x111, v72
	v_lshlrev_b64_e32 v[0:1], 3, v[0:1]
	v_sub_nc_u32_e32 v52, v52, v59
	v_mov_b32_e32 v3, v5
	v_sub_nc_u32_e32 v50, v50, v56
	v_mad_u32_u24 v77, 0x222, v54, v53
	v_mad_co_u64_u32 v[58:59], null, s16, v78, 0
	v_mad_u32_u24 v76, 0x222, v47, v52
	s_delay_alu instid0(VALU_DEP_4) | instskip(SKIP_2) | instid1(VALU_DEP_3)
	v_mad_u32_u24 v74, 0x222, v48, v50
	v_mad_co_u64_u32 v[47:48], null, s16, v73, 0
	v_mad_co_u64_u32 v[51:52], null, s16, v75, 0
	;; [unrolled: 1-line block ×3, first 2 shown]
	v_add_nc_u32_e32 v80, 0x111, v74
	v_mad_co_u64_u32 v[53:54], null, s16, v76, 0
	v_add_nc_u32_e32 v86, 0x111, v76
	v_mad_co_u64_u32 v[55:56], null, s16, v77, 0
	s_delay_alu instid0(VALU_DEP_4) | instskip(NEXT) | instid1(VALU_DEP_3)
	v_mad_co_u64_u32 v[62:63], null, s16, v80, 0
	v_mad_co_u64_u32 v[66:67], null, s16, v86, 0
	v_dual_mov_b32 v5, v48 :: v_dual_mov_b32 v6, v50
	v_dual_mov_b32 v48, v52 :: v_dual_add_nc_u32 v79, 0x111, v73
	v_dual_mov_b32 v50, v54 :: v_dual_add_nc_u32 v81, 0x111, v75
	v_mov_b32_e32 v52, v56
	v_mad_co_u64_u32 v[56:57], null, s17, v72, v[3:4]
	v_mad_co_u64_u32 v[71:72], null, s17, v73, v[5:6]
	;; [unrolled: 1-line block ×3, first 2 shown]
	v_mov_b32_e32 v6, v63
	v_mad_co_u64_u32 v[60:61], null, s16, v79, 0
	v_add_nc_u32_e32 v87, 0x111, v77
	v_mad_co_u64_u32 v[73:74], null, s17, v75, v[48:49]
	v_mad_co_u64_u32 v[74:75], null, s17, v76, v[50:51]
	v_mov_b32_e32 v50, v67
	v_mad_co_u64_u32 v[64:65], null, s16, v81, 0
	v_mad_co_u64_u32 v[68:69], null, s16, v87, 0
	v_dual_mov_b32 v5, v61 :: v_dual_mov_b32 v54, v59
	v_mad_co_u64_u32 v[75:76], null, s17, v77, v[52:53]
	s_delay_alu instid0(VALU_DEP_4) | instskip(NEXT) | instid1(VALU_DEP_3)
	v_mov_b32_e32 v48, v65
	v_mad_co_u64_u32 v[76:77], null, s17, v79, v[5:6]
	v_dual_mov_b32 v52, v69 :: v_dual_mov_b32 v3, v70
	v_mad_co_u64_u32 v[69:70], null, s17, v78, v[54:55]
	v_mad_co_u64_u32 v[77:78], null, s17, v80, v[6:7]
	;; [unrolled: 1-line block ×3, first 2 shown]
	v_mov_b32_e32 v5, v56
	v_lshlrev_b64_e32 v[2:3], 3, v[2:3]
	v_add_co_u32 v0, vcc_lo, v84, v0
	s_wait_alu 0xfffd
	v_add_co_ci_u32_e32 v1, vcc_lo, v85, v1, vcc_lo
	v_mov_b32_e32 v65, v78
	v_mad_co_u64_u32 v[79:80], null, s17, v86, v[50:51]
	v_mad_co_u64_u32 v[80:81], null, s17, v87, v[52:53]
	v_mov_b32_e32 v48, v71
	v_lshlrev_b64_e32 v[4:5], 3, v[4:5]
	v_mov_b32_e32 v50, v72
	v_add_co_u32 v2, vcc_lo, v84, v2
	v_mov_b32_e32 v67, v79
	v_lshlrev_b64_e32 v[47:48], 3, v[47:48]
	v_dual_mov_b32 v52, v73 :: v_dual_mov_b32 v59, v69
	v_mov_b32_e32 v61, v76
	v_mov_b32_e32 v63, v77
	;; [unrolled: 1-line block ×3, first 2 shown]
	s_wait_alu 0xfffd
	v_add_co_ci_u32_e32 v3, vcc_lo, v85, v3, vcc_lo
	v_lshlrev_b64_e32 v[49:50], 3, v[49:50]
	v_add_co_u32 v4, vcc_lo, v84, v4
	v_mov_b32_e32 v54, v74
	s_wait_alu 0xfffd
	v_add_co_ci_u32_e32 v5, vcc_lo, v85, v5, vcc_lo
	v_lshlrev_b64_e32 v[57:58], 3, v[58:59]
	v_lshlrev_b64_e32 v[59:60], 3, v[60:61]
	;; [unrolled: 1-line block ×6, first 2 shown]
	v_add_co_u32 v47, vcc_lo, v84, v47
	v_mov_b32_e32 v56, v75
	s_wait_alu 0xfffd
	v_add_co_ci_u32_e32 v48, vcc_lo, v85, v48, vcc_lo
	v_add_co_u32 v49, vcc_lo, v84, v49
	s_wait_alu 0xfffd
	v_add_co_ci_u32_e32 v50, vcc_lo, v85, v50, vcc_lo
	s_wait_loadcnt 0x5
	v_mul_f32_e32 v69, v18, v26
	v_lshlrev_b64_e32 v[51:52], 3, v[51:52]
	v_mul_f32_e32 v6, v20, v24
	s_wait_loadcnt_dscnt 0x304
	v_dual_mul_f32 v71, v16, v30 :: v_dual_mul_f32 v24, v82, v24
	s_wait_loadcnt 0x1
	v_dual_mul_f32 v73, v14, v34 :: v_dual_mul_f32 v70, v17, v28
	s_wait_dscnt 0x2
	v_mul_f32_e32 v28, v41, v28
	v_lshlrev_b64_e32 v[53:54], 3, v[53:54]
	v_lshlrev_b64_e32 v[55:56], 3, v[55:56]
	v_add_co_u32 v51, vcc_lo, v84, v51
	s_delay_alu instid0(VALU_DEP_4)
	v_fma_f32 v17, v17, v27, -v28
	s_wait_dscnt 0x1
	v_mul_f32_e32 v30, v44, v30
	v_dual_fmac_f32 v71, v44, v29 :: v_dual_mul_f32 v72, v15, v32
	v_fma_f32 v20, v20, v23, -v24
	v_mul_f32_e32 v26, v42, v26
	s_wait_loadcnt_dscnt 0x0
	v_dual_fmac_f32 v73, v46, v33 :: v_dual_mul_f32 v74, v13, v22
	v_mul_f32_e32 v22, v45, v22
	s_wait_alu 0xfffd
	v_add_co_ci_u32_e32 v52, vcc_lo, v85, v52, vcc_lo
	v_add_co_u32 v53, vcc_lo, v84, v53
	s_wait_alu 0xfffd
	v_add_co_ci_u32_e32 v54, vcc_lo, v85, v54, vcc_lo
	v_add_co_u32 v55, vcc_lo, v84, v55
	v_dual_mul_f32 v32, v43, v32 :: v_dual_fmac_f32 v69, v42, v25
	v_fma_f32 v28, v13, v21, -v22
	v_sub_f32_e32 v13, v12, v20
	v_fma_f32 v18, v18, v25, -v26
	v_sub_f32_e32 v25, v39, v73
	v_fmac_f32_e32 v74, v45, v21
	v_fmac_f32_e32 v6, v82, v23
	v_sub_f32_e32 v17, v10, v17
	v_fma_f32 v23, v16, v29, -v30
	v_sub_f32_e32 v21, v37, v71
	v_fmac_f32_e32 v72, v43, v31
	v_mul_f32_e32 v34, v46, v34
	s_wait_alu 0xfffd
	v_add_co_ci_u32_e32 v56, vcc_lo, v85, v56, vcc_lo
	v_add_co_u32 v57, vcc_lo, v84, v57
	s_wait_alu 0xfffd
	v_add_co_ci_u32_e32 v58, vcc_lo, v85, v58, vcc_lo
	v_fma_f32 v24, v15, v31, -v32
	v_dual_sub_f32 v20, v9, v23 :: v_dual_sub_f32 v23, v40, v72
	v_fma_f32 v26, v14, v33, -v34
	v_add_co_u32 v59, vcc_lo, v84, v59
	s_wait_alu 0xfffd
	v_add_co_ci_u32_e32 v60, vcc_lo, v85, v60, vcc_lo
	v_add_co_u32 v61, vcc_lo, v84, v61
	v_fmac_f32_e32 v70, v41, v27
	v_sub_f32_e32 v22, v8, v24
	v_sub_f32_e32 v24, v7, v26
	;; [unrolled: 1-line block ×4, first 2 shown]
	s_wait_alu 0xfffd
	v_add_co_ci_u32_e32 v62, vcc_lo, v85, v62, vcc_lo
	v_add_co_u32 v63, vcc_lo, v84, v63
	v_sub_f32_e32 v16, v35, v69
	s_wait_alu 0xfffd
	v_add_co_ci_u32_e32 v64, vcc_lo, v85, v64, vcc_lo
	v_add_co_u32 v65, vcc_lo, v84, v65
	v_sub_f32_e32 v14, v36, v6
	v_sub_f32_e32 v15, v11, v18
	;; [unrolled: 1-line block ×3, first 2 shown]
	v_fma_f32 v33, v83, 2.0, -v27
	v_fma_f32 v32, v19, 2.0, -v26
	s_wait_alu 0xfffd
	v_add_co_ci_u32_e32 v66, vcc_lo, v85, v66, vcc_lo
	v_fma_f32 v28, v12, 2.0, -v13
	v_fma_f32 v12, v35, 2.0, -v16
	;; [unrolled: 1-line block ×4, first 2 shown]
	v_add_co_u32 v67, vcc_lo, v84, v67
	v_fma_f32 v7, v40, 2.0, -v23
	v_fma_f32 v6, v8, 2.0, -v22
	s_wait_alu 0xfffd
	v_add_co_ci_u32_e32 v68, vcc_lo, v85, v68, vcc_lo
	v_fma_f32 v29, v36, 2.0, -v14
	v_fma_f32 v11, v11, 2.0, -v15
	;; [unrolled: 1-line block ×6, first 2 shown]
	s_clause 0xd
	global_store_b64 v[0:1], v[32:33], off
	global_store_b64 v[2:3], v[26:27], off
	;; [unrolled: 1-line block ×14, first 2 shown]
.LBB0_28:
	s_nop 0
	s_sendmsg sendmsg(MSG_DEALLOC_VGPRS)
	s_endpgm
	.section	.rodata,"a",@progbits
	.p2align	6, 0x0
	.amdhsa_kernel fft_rtc_fwd_len546_factors_13_3_7_2_wgs_117_tpt_39_halfLds_sp_op_CI_CI_sbrr_dirReg
		.amdhsa_group_segment_fixed_size 0
		.amdhsa_private_segment_fixed_size 0
		.amdhsa_kernarg_size 104
		.amdhsa_user_sgpr_count 2
		.amdhsa_user_sgpr_dispatch_ptr 0
		.amdhsa_user_sgpr_queue_ptr 0
		.amdhsa_user_sgpr_kernarg_segment_ptr 1
		.amdhsa_user_sgpr_dispatch_id 0
		.amdhsa_user_sgpr_private_segment_size 0
		.amdhsa_wavefront_size32 1
		.amdhsa_uses_dynamic_stack 0
		.amdhsa_enable_private_segment 0
		.amdhsa_system_sgpr_workgroup_id_x 1
		.amdhsa_system_sgpr_workgroup_id_y 0
		.amdhsa_system_sgpr_workgroup_id_z 0
		.amdhsa_system_sgpr_workgroup_info 0
		.amdhsa_system_vgpr_workitem_id 0
		.amdhsa_next_free_vgpr 98
		.amdhsa_next_free_sgpr 43
		.amdhsa_reserve_vcc 1
		.amdhsa_float_round_mode_32 0
		.amdhsa_float_round_mode_16_64 0
		.amdhsa_float_denorm_mode_32 3
		.amdhsa_float_denorm_mode_16_64 3
		.amdhsa_fp16_overflow 0
		.amdhsa_workgroup_processor_mode 1
		.amdhsa_memory_ordered 1
		.amdhsa_forward_progress 0
		.amdhsa_round_robin_scheduling 0
		.amdhsa_exception_fp_ieee_invalid_op 0
		.amdhsa_exception_fp_denorm_src 0
		.amdhsa_exception_fp_ieee_div_zero 0
		.amdhsa_exception_fp_ieee_overflow 0
		.amdhsa_exception_fp_ieee_underflow 0
		.amdhsa_exception_fp_ieee_inexact 0
		.amdhsa_exception_int_div_zero 0
	.end_amdhsa_kernel
	.text
.Lfunc_end0:
	.size	fft_rtc_fwd_len546_factors_13_3_7_2_wgs_117_tpt_39_halfLds_sp_op_CI_CI_sbrr_dirReg, .Lfunc_end0-fft_rtc_fwd_len546_factors_13_3_7_2_wgs_117_tpt_39_halfLds_sp_op_CI_CI_sbrr_dirReg
                                        ; -- End function
	.section	.AMDGPU.csdata,"",@progbits
; Kernel info:
; codeLenInByte = 15316
; NumSgprs: 45
; NumVgprs: 98
; ScratchSize: 0
; MemoryBound: 0
; FloatMode: 240
; IeeeMode: 1
; LDSByteSize: 0 bytes/workgroup (compile time only)
; SGPRBlocks: 5
; VGPRBlocks: 12
; NumSGPRsForWavesPerEU: 45
; NumVGPRsForWavesPerEU: 98
; Occupancy: 12
; WaveLimiterHint : 1
; COMPUTE_PGM_RSRC2:SCRATCH_EN: 0
; COMPUTE_PGM_RSRC2:USER_SGPR: 2
; COMPUTE_PGM_RSRC2:TRAP_HANDLER: 0
; COMPUTE_PGM_RSRC2:TGID_X_EN: 1
; COMPUTE_PGM_RSRC2:TGID_Y_EN: 0
; COMPUTE_PGM_RSRC2:TGID_Z_EN: 0
; COMPUTE_PGM_RSRC2:TIDIG_COMP_CNT: 0
	.text
	.p2alignl 7, 3214868480
	.fill 96, 4, 3214868480
	.type	__hip_cuid_1f7cf7e5121abe8b,@object ; @__hip_cuid_1f7cf7e5121abe8b
	.section	.bss,"aw",@nobits
	.globl	__hip_cuid_1f7cf7e5121abe8b
__hip_cuid_1f7cf7e5121abe8b:
	.byte	0                               ; 0x0
	.size	__hip_cuid_1f7cf7e5121abe8b, 1

	.ident	"AMD clang version 19.0.0git (https://github.com/RadeonOpenCompute/llvm-project roc-6.4.0 25133 c7fe45cf4b819c5991fe208aaa96edf142730f1d)"
	.section	".note.GNU-stack","",@progbits
	.addrsig
	.addrsig_sym __hip_cuid_1f7cf7e5121abe8b
	.amdgpu_metadata
---
amdhsa.kernels:
  - .args:
      - .actual_access:  read_only
        .address_space:  global
        .offset:         0
        .size:           8
        .value_kind:     global_buffer
      - .offset:         8
        .size:           8
        .value_kind:     by_value
      - .actual_access:  read_only
        .address_space:  global
        .offset:         16
        .size:           8
        .value_kind:     global_buffer
      - .actual_access:  read_only
        .address_space:  global
        .offset:         24
        .size:           8
        .value_kind:     global_buffer
      - .actual_access:  read_only
        .address_space:  global
        .offset:         32
        .size:           8
        .value_kind:     global_buffer
      - .offset:         40
        .size:           8
        .value_kind:     by_value
      - .actual_access:  read_only
        .address_space:  global
        .offset:         48
        .size:           8
        .value_kind:     global_buffer
      - .actual_access:  read_only
        .address_space:  global
        .offset:         56
        .size:           8
        .value_kind:     global_buffer
      - .offset:         64
        .size:           4
        .value_kind:     by_value
      - .actual_access:  read_only
        .address_space:  global
        .offset:         72
        .size:           8
        .value_kind:     global_buffer
      - .actual_access:  read_only
        .address_space:  global
        .offset:         80
        .size:           8
        .value_kind:     global_buffer
      - .actual_access:  read_only
        .address_space:  global
        .offset:         88
        .size:           8
        .value_kind:     global_buffer
      - .actual_access:  write_only
        .address_space:  global
        .offset:         96
        .size:           8
        .value_kind:     global_buffer
    .group_segment_fixed_size: 0
    .kernarg_segment_align: 8
    .kernarg_segment_size: 104
    .language:       OpenCL C
    .language_version:
      - 2
      - 0
    .max_flat_workgroup_size: 117
    .name:           fft_rtc_fwd_len546_factors_13_3_7_2_wgs_117_tpt_39_halfLds_sp_op_CI_CI_sbrr_dirReg
    .private_segment_fixed_size: 0
    .sgpr_count:     45
    .sgpr_spill_count: 0
    .symbol:         fft_rtc_fwd_len546_factors_13_3_7_2_wgs_117_tpt_39_halfLds_sp_op_CI_CI_sbrr_dirReg.kd
    .uniform_work_group_size: 1
    .uses_dynamic_stack: false
    .vgpr_count:     98
    .vgpr_spill_count: 0
    .wavefront_size: 32
    .workgroup_processor_mode: 1
amdhsa.target:   amdgcn-amd-amdhsa--gfx1201
amdhsa.version:
  - 1
  - 2
...

	.end_amdgpu_metadata
